;; amdgpu-corpus repo=ROCm/rocFFT kind=compiled arch=gfx1030 opt=O3
	.text
	.amdgcn_target "amdgcn-amd-amdhsa--gfx1030"
	.amdhsa_code_object_version 6
	.protected	bluestein_single_fwd_len1485_dim1_dp_op_CI_CI ; -- Begin function bluestein_single_fwd_len1485_dim1_dp_op_CI_CI
	.globl	bluestein_single_fwd_len1485_dim1_dp_op_CI_CI
	.p2align	8
	.type	bluestein_single_fwd_len1485_dim1_dp_op_CI_CI,@function
bluestein_single_fwd_len1485_dim1_dp_op_CI_CI: ; @bluestein_single_fwd_len1485_dim1_dp_op_CI_CI
; %bb.0:
	s_load_dwordx4 s[16:19], s[4:5], 0x28
	v_mul_u32_u24_e32 v1, 0x18e, v0
	s_mov_b64 s[46:47], s[2:3]
	s_mov_b64 s[44:45], s[0:1]
	v_mov_b32_e32 v193, 0
	s_add_u32 s44, s44, s7
	v_lshrrev_b32_e32 v1, 16, v1
	s_addc_u32 s45, s45, 0
	s_mov_b32 s0, exec_lo
	v_add_nc_u32_e32 v192, s6, v1
	s_waitcnt lgkmcnt(0)
	v_cmpx_gt_u64_e64 s[16:17], v[192:193]
	s_cbranch_execz .LBB0_18
; %bb.1:
	s_clause 0x1
	s_load_dwordx4 s[0:3], s[4:5], 0x18
	s_load_dwordx4 s[12:15], s[4:5], 0x0
	v_mul_lo_u16 v1, 0xa5, v1
	v_sub_nc_u16 v36, v0, v1
	v_and_b32_e32 v242, 0xffff, v36
	v_lshlrev_b32_e32 v241, 4, v242
	v_add_co_u32 v252, null, 0xa5, v242
	s_waitcnt lgkmcnt(0)
	s_load_dwordx4 s[8:11], s[0:1], 0x0
	v_add_co_u32 v251, null, 0x14a, v242
	global_load_dwordx4 v[243:246], v241, s[12:13]
	s_waitcnt lgkmcnt(0)
	v_mad_u64_u32 v[4:5], null, s10, v192, 0
	v_mad_u64_u32 v[6:7], null, s8, v242, 0
	s_mul_i32 s1, s9, 0x1ef0
	s_mul_hi_u32 s6, s8, 0x1ef0
	s_add_i32 s1, s6, s1
	v_mov_b32_e32 v0, v5
	s_mul_i32 s6, s9, 0xffffcc70
	v_mov_b32_e32 v1, v7
	s_sub_i32 s6, s6, s8
	v_mad_u64_u32 v[7:8], null, s11, v192, v[0:1]
	v_mad_u64_u32 v[8:9], null, s9, v242, v[1:2]
	v_add_co_u32 v0, s0, s12, v241
	v_add_co_ci_u32_e64 v1, null, s13, 0, s0
	v_mov_b32_e32 v5, v7
	v_add_co_u32 v9, vcc_lo, 0x1800, v0
	v_mov_b32_e32 v7, v8
	v_add_co_ci_u32_e32 v10, vcc_lo, 0, v1, vcc_lo
	v_lshlrev_b64 v[4:5], 4, v[4:5]
	v_add_co_u32 v11, vcc_lo, 0x3800, v0
	v_add_co_ci_u32_e32 v12, vcc_lo, 0, v1, vcc_lo
	v_lshlrev_b64 v[6:7], 4, v[6:7]
	v_add_co_u32 v2, vcc_lo, s18, v4
	v_add_co_ci_u32_e32 v3, vcc_lo, s19, v5, vcc_lo
	s_mul_i32 s0, s8, 0x1ef0
	v_add_co_u32 v28, vcc_lo, v2, v6
	v_add_co_ci_u32_e32 v29, vcc_lo, v3, v7, vcc_lo
	v_add_co_u32 v30, vcc_lo, v28, s0
	v_add_co_ci_u32_e32 v31, vcc_lo, s1, v29, vcc_lo
	;; [unrolled: 2-line block ×5, first 2 shown]
	v_mad_u64_u32 v[34:35], null, 0xffffcc70, s8, v[32:33]
	v_add_co_u32 v37, vcc_lo, 0x4800, v0
	v_add_co_ci_u32_e32 v38, vcc_lo, 0, v1, vcc_lo
	v_add_co_u32 v39, vcc_lo, 0x1000, v0
	v_add_co_ci_u32_e32 v40, vcc_lo, 0, v1, vcc_lo
	v_add_nc_u32_e32 v35, s6, v35
	v_add_co_u32 v65, vcc_lo, 0x3000, v0
	v_add_co_ci_u32_e32 v66, vcc_lo, 0, v1, vcc_lo
	v_add_co_u32 v53, vcc_lo, v34, s0
	v_add_co_ci_u32_e32 v54, vcc_lo, s1, v35, vcc_lo
	;; [unrolled: 2-line block ×4, first 2 shown]
	s_clause 0x5
	global_load_dwordx4 v[24:27], v[9:10], off offset:1776
	global_load_dwordx4 v[16:19], v[11:12], off offset:1504
	;; [unrolled: 1-line block ×6, first 2 shown]
	s_clause 0x4
	global_load_dwordx4 v[37:40], v[28:29], off
	global_load_dwordx4 v[41:44], v[30:31], off
	;; [unrolled: 1-line block ×5, first 2 shown]
	v_mad_u64_u32 v[61:62], null, 0xffffcc70, s8, v[57:58]
	global_load_dwordx4 v[57:60], v[57:58], off
	v_add_nc_u32_e32 v62, s6, v62
	v_add_co_u32 v32, vcc_lo, v61, s0
	v_add_co_ci_u32_e32 v33, vcc_lo, s1, v62, vcc_lo
	v_add_co_u32 v71, vcc_lo, v32, s0
	v_add_co_ci_u32_e32 v72, vcc_lo, s1, v33, vcc_lo
	global_load_dwordx4 v[61:64], v[61:62], off
	global_load_dwordx4 v[28:31], v[65:66], off offset:912
	global_load_dwordx4 v[65:68], v[32:33], off
	global_load_dwordx4 v[32:35], v[69:70], off offset:640
	global_load_dwordx4 v[69:72], v[71:72], off
	s_mov_b32 s0, 0xe8584caa
	s_mov_b32 s1, 0x3febb67a
	v_cmp_gt_u16_e32 vcc_lo, 0x84, v36
	s_waitcnt vmcnt(10)
	v_mul_f64 v[73:74], v[39:40], v[245:246]
	v_mul_f64 v[75:76], v[37:38], v[245:246]
	s_waitcnt vmcnt(8)
	v_mul_f64 v[81:82], v[47:48], v[18:19]
	s_waitcnt vmcnt(7)
	;; [unrolled: 2-line block ×3, first 2 shown]
	v_mul_f64 v[89:90], v[55:56], v[14:15]
	v_mul_f64 v[83:84], v[45:46], v[18:19]
	v_mul_f64 v[87:88], v[49:50], v[10:11]
	s_waitcnt vmcnt(5)
	v_mul_f64 v[93:94], v[59:60], v[6:7]
	v_mul_f64 v[91:92], v[53:54], v[14:15]
	;; [unrolled: 1-line block ×5, first 2 shown]
	s_waitcnt vmcnt(4)
	v_mul_f64 v[97:98], v[63:64], v[2:3]
	v_mul_f64 v[99:100], v[61:62], v[2:3]
	s_waitcnt vmcnt(2)
	v_mul_f64 v[101:102], v[67:68], v[30:31]
	v_fma_f64 v[45:46], v[45:46], v[16:17], v[81:82]
	buffer_store_dword v16, off, s[44:47], 0 offset:64 ; 4-byte Folded Spill
	buffer_store_dword v17, off, s[44:47], 0 offset:68 ; 4-byte Folded Spill
	buffer_store_dword v18, off, s[44:47], 0 offset:72 ; 4-byte Folded Spill
	buffer_store_dword v19, off, s[44:47], 0 offset:76 ; 4-byte Folded Spill
	v_fma_f64 v[49:50], v[49:50], v[8:9], v[85:86]
	buffer_store_dword v8, off, s[44:47], 0 offset:32 ; 4-byte Folded Spill
	buffer_store_dword v9, off, s[44:47], 0 offset:36 ; 4-byte Folded Spill
	buffer_store_dword v10, off, s[44:47], 0 offset:40 ; 4-byte Folded Spill
	buffer_store_dword v11, off, s[44:47], 0 offset:44 ; 4-byte Folded Spill
	;; [unrolled: 5-line block ×4, first 2 shown]
	v_mul_f64 v[103:104], v[65:66], v[30:31]
	s_waitcnt vmcnt(0)
	v_mul_f64 v[105:106], v[71:72], v[34:35]
	v_mul_f64 v[107:108], v[69:70], v[34:35]
	v_fma_f64 v[37:38], v[37:38], v[243:244], v[73:74]
	v_fma_f64 v[39:40], v[39:40], v[243:244], -v[75:76]
	v_fma_f64 v[41:42], v[41:42], v[24:25], v[77:78]
	v_fma_f64 v[43:44], v[43:44], v[24:25], -v[79:80]
	v_fma_f64 v[61:62], v[61:62], v[0:1], v[97:98]
	buffer_store_dword v0, off, s[44:47], 0 ; 4-byte Folded Spill
	buffer_store_dword v1, off, s[44:47], 0 offset:4 ; 4-byte Folded Spill
	buffer_store_dword v2, off, s[44:47], 0 offset:8 ; 4-byte Folded Spill
	;; [unrolled: 1-line block ×3, first 2 shown]
	v_fma_f64 v[65:66], v[65:66], v[28:29], v[101:102]
	s_load_dwordx4 s[8:11], s[2:3], 0x0
	s_mov_b32 s3, 0xbfebb67a
	s_mov_b32 s2, s0
	v_mul_u32_u24_e32 v2, 3, v251
	v_fma_f64 v[67:68], v[67:68], v[28:29], -v[103:104]
	v_fma_f64 v[69:70], v[69:70], v[32:33], v[105:106]
	v_fma_f64 v[71:72], v[71:72], v[32:33], -v[107:108]
	v_lshlrev_b32_e32 v255, 4, v2
	v_fma_f64 v[47:48], v[47:48], v[16:17], -v[83:84]
	v_fma_f64 v[51:52], v[51:52], v[8:9], -v[87:88]
	;; [unrolled: 1-line block ×5, first 2 shown]
	v_mul_lo_u16 v0, v36, 3
	ds_write_b128 v241, v[37:40]
	ds_write_b128 v241, v[41:44] offset:7920
	ds_write_b128 v241, v[45:48] offset:15840
	;; [unrolled: 1-line block ×8, first 2 shown]
	s_waitcnt lgkmcnt(0)
	s_waitcnt_vscnt null, 0x0
	s_barrier
	buffer_gl0_inv
	ds_read_b128 v[37:40], v241 offset:7920
	ds_read_b128 v[41:44], v241 offset:15840
	;; [unrolled: 1-line block ×6, first 2 shown]
	ds_read_b128 v[61:64], v241
	ds_read_b128 v[65:68], v241 offset:2640
	ds_read_b128 v[69:72], v241 offset:5280
	v_mul_u32_u24_e32 v1, 3, v252
	s_waitcnt lgkmcnt(0)
	s_barrier
	buffer_gl0_inv
	v_add_f64 v[73:74], v[37:38], v[41:42]
	v_add_f64 v[75:76], v[39:40], v[43:44]
	;; [unrolled: 1-line block ×9, first 2 shown]
	v_add_f64 v[99:100], v[51:52], -v[47:48]
	v_add_f64 v[101:102], v[49:50], -v[45:46]
	;; [unrolled: 1-line block ×3, first 2 shown]
	v_add_f64 v[93:94], v[67:68], v[51:52]
	v_add_f64 v[95:96], v[69:70], v[53:54]
	v_add_f64 v[97:98], v[71:72], v[55:56]
	v_add_f64 v[105:106], v[55:56], -v[59:60]
	v_add_f64 v[109:110], v[53:54], -v[57:58]
	v_fma_f64 v[61:62], v[73:74], -0.5, v[61:62]
	v_add_f64 v[73:74], v[37:38], -v[41:42]
	v_fma_f64 v[65:66], v[77:78], -0.5, v[65:66]
	v_fma_f64 v[103:104], v[79:80], -0.5, v[67:68]
	;; [unrolled: 1-line block ×5, first 2 shown]
	v_add_f64 v[38:39], v[85:86], v[41:42]
	v_add_f64 v[40:41], v[89:90], v[43:44]
	;; [unrolled: 1-line block ×3, first 2 shown]
	v_mov_b32_e32 v37, 4
	v_add_f64 v[44:45], v[93:94], v[47:48]
	v_add_f64 v[76:77], v[95:96], v[57:58]
	;; [unrolled: 1-line block ×3, first 2 shown]
	v_lshlrev_b32_sdwa v249, v37, v0 dst_sel:DWORD dst_unused:UNUSED_PAD src0_sel:DWORD src1_sel:WORD_0
	v_lshlrev_b32_e32 v0, 4, v1
	v_fma_f64 v[46:47], v[87:88], s[0:1], v[61:62]
	v_fma_f64 v[50:51], v[87:88], s[2:3], v[61:62]
	;; [unrolled: 1-line block ×12, first 2 shown]
	ds_write_b128 v249, v[38:41]
	ds_write_b128 v249, v[46:49] offset:16
	ds_write_b128 v249, v[50:53] offset:32
	ds_write_b128 v0, v[42:45]
	ds_write_b128 v0, v[54:57] offset:16
	buffer_store_dword v0, off, s[44:47], 0 offset:88 ; 4-byte Folded Spill
	ds_write_b128 v0, v[68:71] offset:32
	ds_write_b128 v255, v[76:79]
	ds_write_b128 v255, v[80:83] offset:16
	ds_write_b128 v255, v[84:87] offset:32
	s_waitcnt lgkmcnt(0)
	s_waitcnt_vscnt null, 0x0
	s_barrier
	buffer_gl0_inv
	ds_read_b128 v[72:75], v241
	ds_read_b128 v[100:103], v241 offset:4752
	ds_read_b128 v[96:99], v241 offset:9504
	;; [unrolled: 1-line block ×4, first 2 shown]
	s_load_dwordx2 s[2:3], s[4:5], 0x38
                                        ; implicit-def: $vgpr104_vgpr105
	s_and_saveexec_b32 s0, vcc_lo
	s_cbranch_execz .LBB0_3
; %bb.2:
	ds_read_b128 v[68:71], v241 offset:2640
	ds_read_b128 v[76:79], v241 offset:7392
	;; [unrolled: 1-line block ×5, first 2 shown]
.LBB0_3:
	s_or_b32 exec_lo, exec_lo, s0
	v_and_b32_e32 v132, 0xff, v242
	v_mov_b32_e32 v1, 0xaaab
	s_mov_b32 s0, 0x134454ff
	s_mov_b32 s1, 0x3fee6f0e
	;; [unrolled: 1-line block ×3, first 2 shown]
	v_mul_lo_u16 v0, 0xab, v132
	v_mul_u32_u24_sdwa v1, v252, v1 dst_sel:DWORD dst_unused:UNUSED_PAD src0_sel:WORD_0 src1_sel:DWORD
	s_mov_b32 s4, s0
	s_mov_b32 s6, 0x4755a5e
	s_mov_b32 s7, 0x3fe2cf23
	v_lshrrev_b16 v0, 9, v0
	v_lshrrev_b32_e32 v3, 17, v1
	s_mov_b32 s17, 0xbfe2cf23
	s_mov_b32 s16, s6
	v_mul_lo_u16 v2, v0, 3
	buffer_store_dword v3, off, s[44:47], 0 offset:80 ; 4-byte Folded Spill
	v_sub_nc_u16 v1, v242, v2
	v_mul_lo_u16 v2, v3, 3
	v_and_b32_e32 v1, 0xff, v1
	v_sub_nc_u16 v3, v252, v2
	v_lshlrev_b32_e32 v2, 6, v1
	buffer_store_dword v3, off, s[44:47], 0 offset:84 ; 4-byte Folded Spill
	v_lshlrev_b16 v3, 2, v3
	s_clause 0x1
	global_load_dwordx4 v[64:67], v2, s[14:15]
	global_load_dwordx4 v[60:63], v2, s[14:15] offset:16
	v_lshlrev_b32_sdwa v3, v37, v3 dst_sel:DWORD dst_unused:UNUSED_PAD src0_sel:DWORD src1_sel:WORD_0
	s_clause 0x5
	global_load_dwordx4 v[52:55], v2, s[14:15] offset:32
	global_load_dwordx4 v[56:59], v2, s[14:15] offset:48
	global_load_dwordx4 v[36:39], v3, s[14:15]
	global_load_dwordx4 v[48:51], v3, s[14:15] offset:16
	global_load_dwordx4 v[44:47], v3, s[14:15] offset:32
	;; [unrolled: 1-line block ×3, first 2 shown]
	v_mov_b32_e32 v2, 15
	s_waitcnt vmcnt(0) lgkmcnt(0)
	s_waitcnt_vscnt null, 0x0
	s_barrier
	buffer_gl0_inv
	v_mul_u32_u24_sdwa v0, v0, v2 dst_sel:DWORD dst_unused:UNUSED_PAD src0_sel:WORD_0 src1_sel:DWORD
	v_add_lshl_u32 v250, v0, v1, 4
	v_mul_f64 v[108:109], v[102:103], v[66:67]
	v_mul_f64 v[110:111], v[100:101], v[66:67]
	;; [unrolled: 1-line block ×16, first 2 shown]
	v_fma_f64 v[100:101], v[100:101], v[64:65], -v[108:109]
	v_fma_f64 v[102:103], v[102:103], v[64:65], v[110:111]
	v_fma_f64 v[96:97], v[96:97], v[60:61], -v[112:113]
	v_fma_f64 v[98:99], v[98:99], v[60:61], v[114:115]
	;; [unrolled: 2-line block ×6, first 2 shown]
	v_fma_f64 v[84:85], v[84:85], v[44:45], -v[133:134]
	v_fma_f64 v[104:105], v[104:105], v[40:41], -v[135:136]
	v_fma_f64 v[86:87], v[86:87], v[44:45], v[137:138]
	v_fma_f64 v[106:107], v[106:107], v[40:41], v[139:140]
	v_add_f64 v[116:117], v[72:73], v[100:101]
	v_add_f64 v[135:136], v[74:75], v[102:103]
	v_add_f64 v[118:119], v[100:101], -v[96:97]
	v_add_f64 v[130:131], v[96:97], -v[100:101]
	v_add_f64 v[108:109], v[96:97], v[92:93]
	v_add_f64 v[112:113], v[98:99], v[94:95]
	;; [unrolled: 1-line block ×4, first 2 shown]
	v_add_f64 v[128:129], v[88:89], -v[92:93]
	v_add_f64 v[133:134], v[92:93], -v[88:89]
	;; [unrolled: 1-line block ×4, first 2 shown]
	v_add_f64 v[120:121], v[80:81], v[84:85]
	v_add_f64 v[122:123], v[76:77], v[104:105]
	;; [unrolled: 1-line block ×4, first 2 shown]
	v_add_f64 v[141:142], v[98:99], -v[102:103]
	v_add_f64 v[143:144], v[94:95], -v[90:91]
	v_add_f64 v[145:146], v[68:69], v[76:77]
	v_add_f64 v[147:148], v[76:77], -v[80:81]
	v_add_f64 v[149:150], v[104:105], -v[84:85]
	;; [unrolled: 1-line block ×3, first 2 shown]
	v_add_f64 v[155:156], v[70:71], v[78:79]
	v_add_f64 v[157:158], v[78:79], -v[82:83]
	v_add_f64 v[161:162], v[82:83], -v[78:79]
	;; [unrolled: 1-line block ×6, first 2 shown]
	v_fma_f64 v[108:109], v[108:109], -0.5, v[72:73]
	v_add_f64 v[78:79], v[78:79], -v[106:107]
	v_fma_f64 v[72:73], v[110:111], -0.5, v[72:73]
	v_add_f64 v[110:111], v[82:83], -v[86:87]
	;; [unrolled: 2-line block ×4, first 2 shown]
	v_fma_f64 v[120:121], v[120:121], -0.5, v[68:69]
	v_fma_f64 v[68:69], v[122:123], -0.5, v[68:69]
	v_fma_f64 v[122:123], v[124:125], -0.5, v[70:71]
	v_fma_f64 v[70:71], v[126:127], -0.5, v[70:71]
	v_add_f64 v[153:154], v[84:85], -v[104:105]
	v_add_f64 v[159:160], v[106:107], -v[86:87]
	;; [unrolled: 1-line block ×3, first 2 shown]
	v_add_f64 v[118:119], v[118:119], v[128:129]
	v_add_f64 v[124:125], v[130:131], v[133:134]
	;; [unrolled: 1-line block ×9, first 2 shown]
	v_fma_f64 v[133:134], v[102:103], s[0:1], v[108:109]
	v_fma_f64 v[108:109], v[102:103], s[4:5], v[108:109]
	;; [unrolled: 1-line block ×16, first 2 shown]
	v_add_f64 v[130:131], v[151:152], v[153:154]
	v_add_f64 v[149:150], v[157:158], v[159:160]
	;; [unrolled: 1-line block ×7, first 2 shown]
	v_fma_f64 v[84:85], v[165:166], s[6:7], v[133:134]
	v_fma_f64 v[86:87], v[165:166], s[16:17], v[108:109]
	;; [unrolled: 1-line block ×16, first 2 shown]
	s_mov_b32 s0, 0x372fe950
	s_mov_b32 s1, 0x3fd3c6ef
	v_add_f64 v[112:113], v[92:93], v[88:89]
	v_add_f64 v[114:115], v[94:95], v[90:91]
	;; [unrolled: 1-line block ×4, first 2 shown]
	v_fma_f64 v[88:89], v[118:119], s[0:1], v[84:85]
	v_fma_f64 v[100:101], v[118:119], s[0:1], v[86:87]
	;; [unrolled: 1-line block ×16, first 2 shown]
	ds_write_b128 v250, v[112:115]
	ds_write_b128 v250, v[88:91] offset:48
	ds_write_b128 v250, v[96:99] offset:96
	;; [unrolled: 1-line block ×4, first 2 shown]
	s_and_saveexec_b32 s0, vcc_lo
	s_cbranch_execz .LBB0_5
; %bb.4:
	s_clause 0x1
	buffer_load_dword v0, off, s[44:47], 0 offset:80
	buffer_load_dword v1, off, s[44:47], 0 offset:84
	s_waitcnt vmcnt(0)
	v_mad_u16 v0, v0, 15, v1
	v_mov_b32_e32 v1, 4
	v_lshlrev_b32_sdwa v0, v1, v0 dst_sel:DWORD dst_unused:UNUSED_PAD src0_sel:DWORD src1_sel:WORD_0
	ds_write_b128 v0, v[108:111]
	ds_write_b128 v0, v[116:119] offset:48
	ds_write_b128 v0, v[104:107] offset:96
	;; [unrolled: 1-line block ×4, first 2 shown]
.LBB0_5:
	s_or_b32 exec_lo, exec_lo, s0
	v_cmp_gt_u16_e64 s0, 0x87, v242
	s_waitcnt lgkmcnt(0)
	s_barrier
	buffer_gl0_inv
                                        ; implicit-def: $vgpr128_vgpr129
	s_and_saveexec_b32 s1, s0
	s_cbranch_execz .LBB0_7
; %bb.6:
	ds_read_b128 v[112:115], v241
	ds_read_b128 v[88:91], v241 offset:2160
	ds_read_b128 v[96:99], v241 offset:4320
	;; [unrolled: 1-line block ×10, first 2 shown]
.LBB0_7:
	s_or_b32 exec_lo, exec_lo, s1
	v_mul_lo_u16 v0, 0x89, v132
	s_mov_b32 s16, 0xf8bb580b
	s_mov_b32 s17, 0xbfe14ced
	;; [unrolled: 1-line block ×4, first 2 shown]
	v_lshrrev_b16 v247, 11, v0
	s_mov_b32 s7, 0x3feaeb8c
	s_mov_b32 s19, 0xbfed1bb4
	;; [unrolled: 1-line block ×4, first 2 shown]
	v_mul_lo_u16 v0, v247, 15
	s_mov_b32 s28, 0x43842ef
	s_mov_b32 s29, 0xbfefac9e
	;; [unrolled: 1-line block ×4, first 2 shown]
	v_sub_nc_u16 v0, v242, v0
	s_mov_b32 s24, 0xbb3a28a1
	s_mov_b32 s25, 0xbfe82f19
	;; [unrolled: 1-line block ×4, first 2 shown]
	v_and_b32_e32 v248, 0xff, v0
	s_mov_b32 s34, 0xfd768dbf
	s_mov_b32 s35, 0x3fd207e7
	;; [unrolled: 1-line block ×4, first 2 shown]
	v_mad_u64_u32 v[136:137], null, 0xa0, v248, s[14:15]
	s_mov_b32 s26, 0x9bcd5057
	s_mov_b32 s27, 0xbfeeb42a
	s_mov_b32 s37, 0x3fefac9e
	s_mov_b32 s36, s28
	s_mov_b32 s39, 0x3fe14ced
	s_mov_b32 s38, s16
	s_clause 0x4
	global_load_dwordx4 v[68:71], v[136:137], off offset:192
	global_load_dwordx4 v[76:79], v[136:137], off offset:336
	global_load_dwordx4 v[72:75], v[136:137], off offset:208
	global_load_dwordx4 v[80:83], v[136:137], off offset:320
	global_load_dwordx4 v[84:87], v[136:137], off offset:224
	s_waitcnt vmcnt(4) lgkmcnt(9)
	v_mul_f64 v[132:133], v[90:91], v[70:71]
	v_mul_f64 v[134:135], v[88:89], v[70:71]
	s_waitcnt vmcnt(3) lgkmcnt(0)
	v_mul_f64 v[138:139], v[128:129], v[78:79]
	v_fma_f64 v[193:194], v[88:89], v[68:69], -v[132:133]
	v_fma_f64 v[205:206], v[90:91], v[68:69], v[134:135]
	v_mul_f64 v[88:89], v[130:131], v[78:79]
	s_waitcnt vmcnt(2)
	v_mul_f64 v[90:91], v[98:99], v[74:75]
	s_waitcnt vmcnt(1)
	v_mul_f64 v[132:133], v[124:125], v[82:83]
	v_fma_f64 v[130:131], v[130:131], v[76:77], v[138:139]
	v_fma_f64 v[128:129], v[128:129], v[76:77], -v[88:89]
	v_mul_f64 v[88:89], v[96:97], v[74:75]
	v_fma_f64 v[144:145], v[96:97], v[72:73], -v[90:91]
	s_waitcnt vmcnt(0)
	v_mul_f64 v[96:97], v[94:95], v[86:87]
	v_add_f64 v[229:230], v[205:206], -v[130:131]
	v_add_f64 v[233:234], v[205:206], v[130:131]
	v_add_f64 v[227:228], v[193:194], v[128:129]
	v_fma_f64 v[162:163], v[98:99], v[72:73], v[88:89]
	v_mul_f64 v[88:89], v[126:127], v[82:83]
	v_fma_f64 v[166:167], v[92:93], v[84:85], -v[96:97]
	v_mul_f64 v[92:93], v[92:93], v[86:87]
	v_fma_f64 v[126:127], v[126:127], v[80:81], v[132:133]
	v_mul_f64 v[225:226], v[229:230], s[16:17]
	v_add_f64 v[235:236], v[193:194], -v[128:129]
	v_mul_f64 v[237:238], v[229:230], s[18:19]
	v_fma_f64 v[124:125], v[124:125], v[80:81], -v[88:89]
	global_load_dwordx4 v[88:91], v[136:137], off offset:240
	v_fma_f64 v[180:181], v[94:95], v[84:85], v[92:93]
	s_clause 0x1
	global_load_dwordx4 v[92:95], v[136:137], off offset:304
	global_load_dwordx4 v[96:99], v[136:137], off offset:288
	v_add_f64 v[158:159], v[162:163], v[126:127]
	v_mul_f64 v[231:232], v[235:236], s[16:17]
	v_mul_f64 v[239:240], v[235:236], s[18:19]
	v_add_f64 v[160:161], v[144:145], -v[124:125]
	v_mul_f64 v[217:218], v[160:161], s[18:19]
	v_mul_f64 v[201:202], v[160:161], s[24:25]
	v_fma_f64 v[140:141], v[158:159], s[4:5], -v[217:218]
	v_fma_f64 v[172:173], v[158:159], s[22:23], -v[201:202]
	s_waitcnt vmcnt(1)
	v_mul_f64 v[132:133], v[120:121], v[94:95]
	v_fma_f64 v[132:133], v[122:123], v[92:93], v[132:133]
	v_mul_f64 v[122:123], v[122:123], v[94:95]
	v_add_f64 v[142:143], v[180:181], -v[132:133]
	v_fma_f64 v[120:121], v[120:121], v[92:93], -v[122:123]
	v_mul_f64 v[122:123], v[102:103], v[90:91]
	v_add_f64 v[176:177], v[180:181], v[132:133]
	v_mul_f64 v[211:212], v[142:143], s[28:29]
	v_add_f64 v[182:183], v[166:167], -v[120:121]
	v_fma_f64 v[178:179], v[100:101], v[88:89], -v[122:123]
	v_mul_f64 v[100:101], v[100:101], v[90:91]
	v_mul_f64 v[219:220], v[182:183], s[28:29]
	;; [unrolled: 1-line block ×3, first 2 shown]
	v_fma_f64 v[195:196], v[102:103], v[88:89], v[100:101]
	s_waitcnt vmcnt(0)
	v_mul_f64 v[100:101], v[106:107], v[98:99]
	v_fma_f64 v[122:123], v[104:105], v[96:97], -v[100:101]
	v_mul_f64 v[100:101], v[104:105], v[98:99]
	v_add_f64 v[197:198], v[178:179], -v[122:123]
	v_fma_f64 v[134:135], v[106:107], v[96:97], v[100:101]
	s_clause 0x1
	global_load_dwordx4 v[100:103], v[136:137], off offset:256
	global_load_dwordx4 v[104:107], v[136:137], off offset:272
	s_waitcnt vmcnt(0)
	s_barrier
	buffer_gl0_inv
	v_mul_f64 v[221:222], v[197:198], s[24:25]
	v_add_f64 v[156:157], v[195:196], -v[134:135]
	v_add_f64 v[164:165], v[195:196], v[134:135]
	v_mul_f64 v[186:187], v[197:198], s[36:37]
	v_mul_f64 v[215:216], v[156:157], s[24:25]
	;; [unrolled: 1-line block ×3, first 2 shown]
	v_fma_f64 v[190:191], v[108:109], v[100:101], -v[136:137]
	v_mul_f64 v[108:109], v[108:109], v[102:103]
	v_fma_f64 v[199:200], v[110:111], v[100:101], v[108:109]
	v_mul_f64 v[108:109], v[118:119], v[106:107]
	v_fma_f64 v[136:137], v[116:117], v[104:105], -v[108:109]
	v_mul_f64 v[108:109], v[116:117], v[106:107]
	v_add_f64 v[116:117], v[144:145], v[124:125]
	v_add_f64 v[152:153], v[190:191], v[136:137]
	v_fma_f64 v[138:139], v[118:119], v[104:105], v[108:109]
	v_add_f64 v[118:119], v[162:163], -v[126:127]
	v_fma_f64 v[108:109], v[227:228], s[6:7], v[225:226]
	v_add_f64 v[207:208], v[190:191], -v[136:137]
	v_add_f64 v[154:155], v[199:200], -v[138:139]
	v_mul_f64 v[209:210], v[118:119], s[18:19]
	v_add_f64 v[108:109], v[112:113], v[108:109]
	v_add_f64 v[168:169], v[199:200], v[138:139]
	v_mul_f64 v[223:224], v[207:208], s[30:31]
	v_mul_f64 v[170:171], v[118:119], s[24:25]
	;; [unrolled: 1-line block ×3, first 2 shown]
	v_fma_f64 v[110:111], v[116:117], s[4:5], v[209:210]
	v_fma_f64 v[150:151], v[116:117], s[22:23], v[170:171]
	v_add_f64 v[108:109], v[110:111], v[108:109]
	v_fma_f64 v[110:111], v[233:234], s[6:7], -v[231:232]
	v_add_f64 v[110:111], v[114:115], v[110:111]
	v_add_f64 v[110:111], v[140:141], v[110:111]
	;; [unrolled: 1-line block ×3, first 2 shown]
	v_fma_f64 v[146:147], v[140:141], s[20:21], v[211:212]
	v_add_f64 v[108:109], v[146:147], v[108:109]
	v_fma_f64 v[146:147], v[176:177], s[20:21], -v[219:220]
	v_add_f64 v[110:111], v[146:147], v[110:111]
	v_add_f64 v[146:147], v[178:179], v[122:123]
	v_fma_f64 v[148:149], v[146:147], s[22:23], v[215:216]
	v_add_f64 v[108:109], v[148:149], v[108:109]
	v_fma_f64 v[148:149], v[164:165], s[22:23], -v[221:222]
	v_add_f64 v[110:111], v[148:149], v[110:111]
	v_fma_f64 v[148:149], v[152:153], s[26:27], v[213:214]
	v_add_f64 v[108:109], v[148:149], v[108:109]
	v_fma_f64 v[148:149], v[168:169], s[26:27], -v[223:224]
	v_add_f64 v[110:111], v[148:149], v[110:111]
	v_fma_f64 v[148:149], v[227:228], s[4:5], v[237:238]
	v_add_f64 v[148:149], v[112:113], v[148:149]
	v_add_f64 v[148:149], v[150:151], v[148:149]
	v_fma_f64 v[150:151], v[233:234], s[4:5], -v[239:240]
	v_add_f64 v[150:151], v[114:115], v[150:151]
	v_add_f64 v[150:151], v[172:173], v[150:151]
	v_mul_f64 v[172:173], v[142:143], s[34:35]
	v_fma_f64 v[174:175], v[140:141], s[26:27], v[172:173]
	v_add_f64 v[148:149], v[174:175], v[148:149]
	v_fma_f64 v[174:175], v[176:177], s[26:27], -v[203:204]
	v_add_f64 v[150:151], v[174:175], v[150:151]
	v_mul_f64 v[174:175], v[156:157], s[36:37]
	v_fma_f64 v[184:185], v[146:147], s[20:21], v[174:175]
	v_add_f64 v[148:149], v[184:185], v[148:149]
	v_fma_f64 v[184:185], v[164:165], s[20:21], -v[186:187]
	v_add_f64 v[150:151], v[184:185], v[150:151]
	v_mul_f64 v[184:185], v[154:155], s[38:39]
	v_fma_f64 v[188:189], v[152:153], s[6:7], v[184:185]
	v_add_f64 v[148:149], v[188:189], v[148:149]
	v_mul_f64 v[188:189], v[207:208], s[38:39]
	v_fma_f64 v[253:254], v[168:169], s[6:7], -v[188:189]
	v_add_f64 v[150:151], v[253:254], v[150:151]
	s_and_saveexec_b32 s1, s0
	s_cbranch_execz .LBB0_9
; %bb.8:
	buffer_store_dword v243, off, s[44:47], 0 offset:92 ; 4-byte Folded Spill
	buffer_store_dword v244, off, s[44:47], 0 offset:96 ; 4-byte Folded Spill
	buffer_store_dword v245, off, s[44:47], 0 offset:100 ; 4-byte Folded Spill
	buffer_store_dword v246, off, s[44:47], 0 offset:104 ; 4-byte Folded Spill
	v_mul_f64 v[253:254], v[233:234], s[26:27]
	v_mul_f64 v[245:246], v[233:234], s[22:23]
	;; [unrolled: 1-line block ×3, first 2 shown]
	s_mov_b32 s41, 0x3fe82f19
	s_mov_b32 s40, s24
	buffer_store_dword v247, off, s[44:47], 0 offset:108 ; 4-byte Folded Spill
	buffer_store_dword v248, off, s[44:47], 0 offset:112 ; 4-byte Folded Spill
	v_add_f64 v[193:194], v[112:113], v[193:194]
	v_add_f64 v[205:206], v[114:115], v[205:206]
	v_mul_f64 v[12:13], v[142:143], s[24:25]
	s_mov_b32 s43, 0x3fed1bb4
	s_mov_b32 s42, s18
	v_mul_f64 v[20:21], v[154:155], s[28:29]
	v_mul_f64 v[16:17], v[156:157], s[42:43]
	v_fma_f64 v[243:244], v[235:236], s[34:35], v[253:254]
	v_fma_f64 v[253:254], v[235:236], s[30:31], v[253:254]
	;; [unrolled: 1-line block ×6, first 2 shown]
	v_mul_f64 v[235:236], v[233:234], s[4:5]
	v_mul_f64 v[233:234], v[233:234], s[6:7]
	v_fma_f64 v[14:15], v[140:141], s[22:23], v[12:13]
	v_fma_f64 v[12:13], v[140:141], s[22:23], -v[12:13]
	v_fma_f64 v[22:23], v[152:153], s[20:21], v[20:21]
	v_fma_f64 v[18:19], v[146:147], s[4:5], v[16:17]
	v_add_f64 v[245:246], v[114:115], v[245:246]
	v_add_f64 v[2:3], v[114:115], v[2:3]
	;; [unrolled: 1-line block ×4, first 2 shown]
	v_mul_f64 v[239:240], v[227:228], s[4:5]
	v_add_f64 v[231:232], v[231:232], v[233:234]
	v_mul_f64 v[233:234], v[229:230], s[30:31]
	v_add_f64 v[235:236], v[114:115], v[235:236]
	v_add_f64 v[237:238], v[239:240], -v[237:238]
	v_mul_f64 v[239:240], v[229:230], s[24:25]
	v_mul_f64 v[229:230], v[229:230], s[28:29]
	v_fma_f64 v[4:5], v[227:228], s[26:27], v[233:234]
	v_fma_f64 v[6:7], v[227:228], s[26:27], -v[233:234]
	v_add_f64 v[231:232], v[114:115], v[231:232]
	v_add_f64 v[237:238], v[112:113], v[237:238]
	v_fma_f64 v[233:234], v[227:228], s[22:23], v[239:240]
	v_fma_f64 v[239:240], v[227:228], s[22:23], -v[239:240]
	v_fma_f64 v[8:9], v[227:228], s[20:21], v[229:230]
	v_fma_f64 v[10:11], v[227:228], s[20:21], -v[229:230]
	v_mul_f64 v[227:228], v[227:228], s[6:7]
	v_add_f64 v[4:5], v[112:113], v[4:5]
	v_add_f64 v[6:7], v[112:113], v[6:7]
	;; [unrolled: 1-line block ×3, first 2 shown]
	v_mul_f64 v[253:254], v[176:177], s[22:23]
	v_add_f64 v[233:234], v[112:113], v[233:234]
	v_add_f64 v[239:240], v[112:113], v[239:240]
	;; [unrolled: 1-line block ×4, first 2 shown]
	v_add_f64 v[225:226], v[227:228], -v[225:226]
	v_add_f64 v[227:228], v[114:115], v[243:244]
	v_add_f64 v[243:244], v[114:115], v[247:248]
	;; [unrolled: 1-line block ×3, first 2 shown]
	v_mul_f64 v[225:226], v[158:159], s[6:7]
	v_fma_f64 v[112:113], v[160:161], s[16:17], v[225:226]
	v_add_f64 v[112:113], v[112:113], v[227:228]
	v_mul_f64 v[227:228], v[118:119], s[38:39]
	v_fma_f64 v[114:115], v[116:117], s[6:7], v[227:228]
	v_add_f64 v[4:5], v[114:115], v[4:5]
	v_fma_f64 v[114:115], v[182:183], s[40:41], v[253:254]
	v_add_f64 v[4:5], v[14:15], v[4:5]
	v_mul_f64 v[14:15], v[164:165], s[4:5]
	v_add_f64 v[112:113], v[114:115], v[112:113]
	v_add_f64 v[4:5], v[18:19], v[4:5]
	v_fma_f64 v[114:115], v[197:198], s[18:19], v[14:15]
	v_mul_f64 v[18:19], v[168:169], s[20:21]
	v_add_f64 v[112:113], v[114:115], v[112:113]
	v_fma_f64 v[114:115], v[207:208], s[36:37], v[18:19]
	v_add_f64 v[114:115], v[114:115], v[112:113]
	v_add_f64 v[112:113], v[22:23], v[4:5]
	v_fma_f64 v[4:5], v[160:161], s[38:39], v[225:226]
	v_fma_f64 v[22:23], v[116:117], s[6:7], -v[227:228]
	v_add_f64 v[4:5], v[4:5], v[229:230]
	v_add_f64 v[6:7], v[22:23], v[6:7]
	v_fma_f64 v[22:23], v[182:183], s[24:25], v[253:254]
	v_add_f64 v[6:7], v[12:13], v[6:7]
	v_add_f64 v[4:5], v[22:23], v[4:5]
	v_fma_f64 v[12:13], v[197:198], s[42:43], v[14:15]
	v_fma_f64 v[14:15], v[152:153], s[20:21], -v[20:21]
	v_add_f64 v[20:21], v[193:194], v[144:145]
	v_mul_f64 v[193:194], v[164:165], s[6:7]
	v_mul_f64 v[22:23], v[140:141], s[20:21]
	;; [unrolled: 1-line block ×3, first 2 shown]
	v_add_f64 v[4:5], v[12:13], v[4:5]
	v_fma_f64 v[12:13], v[146:147], s[4:5], -v[16:17]
	v_add_f64 v[20:21], v[20:21], v[166:167]
	v_mul_f64 v[16:17], v[116:117], s[4:5]
	v_mul_f64 v[166:167], v[168:169], s[4:5]
	v_add_f64 v[22:23], v[22:23], -v[211:212]
	v_add_f64 v[144:145], v[144:145], -v[215:216]
	v_add_f64 v[6:7], v[12:13], v[6:7]
	v_fma_f64 v[12:13], v[207:208], s[28:29], v[18:19]
	v_add_f64 v[18:19], v[205:206], v[162:163]
	v_add_f64 v[20:21], v[20:21], v[178:179]
	v_add_f64 v[16:17], v[16:17], -v[209:210]
	v_fma_f64 v[178:179], v[207:208], s[18:19], v[166:167]
	v_fma_f64 v[166:167], v[207:208], s[42:43], v[166:167]
	v_mul_f64 v[162:163], v[152:153], s[26:27]
	v_add_f64 v[225:226], v[14:15], v[6:7]
	v_mul_f64 v[14:15], v[158:159], s[4:5]
	v_add_f64 v[18:19], v[18:19], v[180:181]
	v_add_f64 v[20:21], v[20:21], v[190:191]
	;; [unrolled: 1-line block ×3, first 2 shown]
	v_mul_f64 v[12:13], v[176:177], s[20:21]
	v_mul_f64 v[180:181], v[168:169], s[22:23]
	;; [unrolled: 1-line block ×3, first 2 shown]
	v_add_f64 v[16:17], v[16:17], v[247:248]
	s_clause 0x1
	buffer_load_dword v248, off, s[44:47], 0 offset:112
	buffer_load_dword v247, off, s[44:47], 0 offset:108
	v_mul_f64 v[4:5], v[168:169], s[26:27]
	v_add_f64 v[162:163], v[162:163], -v[213:214]
	v_add_f64 v[14:15], v[217:218], v[14:15]
	v_add_f64 v[18:19], v[18:19], v[195:196]
	;; [unrolled: 1-line block ×3, first 2 shown]
	v_mul_f64 v[136:137], v[164:165], s[26:27]
	v_fma_f64 v[195:196], v[197:198], s[38:39], v[193:194]
	v_fma_f64 v[193:194], v[197:198], s[16:17], v[193:194]
	v_add_f64 v[12:13], v[219:220], v[12:13]
	v_fma_f64 v[190:191], v[207:208], s[40:41], v[180:181]
	v_fma_f64 v[180:181], v[207:208], s[24:25], v[180:181]
	v_mul_f64 v[207:208], v[158:159], s[26:27]
	v_add_f64 v[6:7], v[221:222], v[6:7]
	v_add_f64 v[4:5], v[223:224], v[4:5]
	;; [unrolled: 1-line block ×5, first 2 shown]
	v_mul_f64 v[122:123], v[176:177], s[6:7]
	v_fma_f64 v[209:210], v[160:161], s[30:31], v[207:208]
	v_add_f64 v[12:13], v[12:13], v[14:15]
	v_add_f64 v[18:19], v[18:19], v[138:139]
	v_fma_f64 v[138:139], v[197:198], s[34:35], v[136:137]
	v_fma_f64 v[136:137], v[197:198], s[30:31], v[136:137]
	v_mul_f64 v[197:198], v[176:177], s[4:5]
	v_mul_f64 v[176:177], v[176:177], s[26:27]
	v_add_f64 v[14:15], v[22:23], v[16:17]
	v_mul_f64 v[22:23], v[118:119], s[34:35]
	v_add_f64 v[2:3], v[209:210], v[2:3]
	v_add_f64 v[6:7], v[6:7], v[12:13]
	;; [unrolled: 1-line block ×3, first 2 shown]
	v_fma_f64 v[134:135], v[182:183], s[38:39], v[122:123]
	v_fma_f64 v[122:123], v[182:183], s[16:17], v[122:123]
	v_fma_f64 v[199:200], v[182:183], s[18:19], v[197:198]
	v_fma_f64 v[182:183], v[182:183], s[42:43], v[197:198]
	v_mul_f64 v[197:198], v[158:159], s[20:21]
	v_add_f64 v[176:177], v[203:204], v[176:177]
	v_mul_f64 v[203:204], v[118:119], s[36:37]
	v_mul_f64 v[158:159], v[158:159], s[22:23]
	v_fma_f64 v[118:119], v[116:117], s[26:27], v[22:23]
	v_fma_f64 v[22:23], v[116:117], s[26:27], -v[22:23]
	v_add_f64 v[12:13], v[144:145], v[14:15]
	v_add_f64 v[16:17], v[18:19], v[132:133]
	;; [unrolled: 1-line block ×3, first 2 shown]
	v_mul_f64 v[120:121], v[142:143], s[16:17]
	v_add_f64 v[2:3], v[199:200], v[2:3]
	v_fma_f64 v[205:206], v[160:161], s[28:29], v[197:198]
	v_fma_f64 v[197:198], v[160:161], s[36:37], v[197:198]
	v_fma_f64 v[20:21], v[116:117], s[20:21], -v[203:204]
	v_add_f64 v[158:159], v[201:202], v[158:159]
	v_add_f64 v[8:9], v[118:119], v[8:9]
	;; [unrolled: 1-line block ×3, first 2 shown]
	v_fma_f64 v[160:161], v[160:161], s[34:35], v[207:208]
	v_add_f64 v[14:15], v[16:17], v[126:127]
	v_add_f64 v[16:17], v[18:19], v[124:125]
	v_fma_f64 v[132:133], v[140:141], s[6:7], v[120:121]
	v_fma_f64 v[120:121], v[140:141], s[6:7], -v[120:121]
	v_mul_f64 v[18:19], v[142:143], s[42:43]
	v_add_f64 v[201:202], v[205:206], v[243:244]
	v_add_f64 v[197:198], v[197:198], v[245:246]
	s_clause 0x3
	buffer_load_dword v243, off, s[44:47], 0 offset:92
	buffer_load_dword v244, off, s[44:47], 0 offset:96
	;; [unrolled: 1-line block ×4, first 2 shown]
	v_add_f64 v[20:21], v[20:21], v[239:240]
	v_fma_f64 v[205:206], v[116:117], s[20:21], v[203:204]
	v_add_f64 v[22:23], v[158:159], v[235:236]
	v_mul_f64 v[116:117], v[116:117], s[22:23]
	v_add_f64 v[0:1], v[160:161], v[0:1]
	v_mul_f64 v[126:127], v[154:155], s[24:25]
	v_add_f64 v[2:3], v[195:196], v[2:3]
	v_add_f64 v[118:119], v[134:135], v[201:202]
	;; [unrolled: 1-line block ×4, first 2 shown]
	v_fma_f64 v[120:121], v[140:141], s[4:5], v[18:19]
	v_fma_f64 v[18:19], v[140:141], s[4:5], -v[18:19]
	v_add_f64 v[205:206], v[205:206], v[233:234]
	v_add_f64 v[22:23], v[176:177], v[22:23]
	v_add_f64 v[116:117], v[116:117], -v[170:171]
	v_add_f64 v[0:1], v[182:183], v[0:1]
	v_add_f64 v[8:9], v[120:121], v[8:9]
	;; [unrolled: 1-line block ×4, first 2 shown]
	v_mul_f64 v[118:119], v[156:157], s[30:31]
	v_add_f64 v[132:133], v[132:133], v[205:206]
	v_add_f64 v[116:117], v[116:117], v[237:238]
	;; [unrolled: 1-line block ×3, first 2 shown]
	v_fma_f64 v[120:121], v[146:147], s[26:27], v[118:119]
	v_fma_f64 v[118:119], v[146:147], s[26:27], -v[118:119]
	v_add_f64 v[134:135], v[180:181], v[0:1]
	v_mov_b32_e32 v0, 0xa5
	v_add_f64 v[124:125], v[120:121], v[132:133]
	v_add_f64 v[20:21], v[118:119], v[20:21]
	v_mul_f64 v[118:119], v[156:157], s[16:17]
	v_add_f64 v[132:133], v[136:137], v[122:123]
	v_mul_f64 v[122:123], v[168:169], s[6:7]
	v_fma_f64 v[120:121], v[146:147], s[6:7], -v[118:119]
	v_fma_f64 v[118:119], v[146:147], s[6:7], v[118:119]
	v_add_f64 v[136:137], v[188:189], v[122:123]
	v_mul_f64 v[122:123], v[146:147], s[20:21]
	v_add_f64 v[10:11], v[120:121], v[10:11]
	v_mul_f64 v[120:121], v[164:165], s[20:21]
	v_add_f64 v[8:9], v[118:119], v[8:9]
	v_add_f64 v[122:123], v[122:123], -v[174:175]
	v_add_f64 v[118:119], v[4:5], v[6:7]
	v_add_f64 v[120:121], v[186:187], v[120:121]
	;; [unrolled: 1-line block ×3, first 2 shown]
	v_mul_f64 v[120:121], v[152:153], s[6:7]
	s_waitcnt vmcnt(4)
	v_mul_u32_u24_sdwa v0, v247, v0 dst_sel:DWORD dst_unused:UNUSED_PAD src0_sel:WORD_0 src1_sel:DWORD
	v_add_lshl_u32 v0, v0, v248, 4
	v_add_f64 v[138:139], v[136:137], v[22:23]
	v_add_f64 v[142:143], v[120:121], -v[184:185]
	v_mul_f64 v[120:121], v[140:141], s[26:27]
	v_add_f64 v[120:121], v[120:121], -v[172:173]
	v_add_f64 v[116:117], v[120:121], v[116:117]
	v_mul_f64 v[120:121], v[154:155], s[42:43]
	v_fma_f64 v[154:155], v[152:153], s[22:23], -v[126:127]
	v_add_f64 v[140:141], v[122:123], v[116:117]
	v_fma_f64 v[146:147], v[152:153], s[4:5], -v[120:121]
	v_fma_f64 v[144:145], v[152:153], s[4:5], v[120:121]
	v_fma_f64 v[152:153], v[152:153], s[22:23], v[126:127]
	v_add_f64 v[122:123], v[14:15], v[130:131]
	v_add_f64 v[120:121], v[16:17], v[128:129]
	;; [unrolled: 1-line block ×11, first 2 shown]
	ds_write_b128 v0, v[120:123]
	ds_write_b128 v0, v[116:119] offset:240
	ds_write_b128 v0, v[136:139] offset:480
	;; [unrolled: 1-line block ×10, first 2 shown]
.LBB0_9:
	s_or_b32 exec_lo, exec_lo, s1
	v_mov_b32_e32 v0, 0x8d31
	s_waitcnt vmcnt(0) lgkmcnt(0)
	s_waitcnt_vscnt null, 0x0
	s_barrier
	buffer_gl0_inv
	s_mov_b32 s4, 0xe8584caa
	v_mul_u32_u24_sdwa v0, v251, v0 dst_sel:DWORD dst_unused:UNUSED_PAD src0_sel:WORD_0 src1_sel:DWORD
	s_mov_b32 s5, 0x3febb67a
	s_mov_b32 s7, 0xbfebb67a
	;; [unrolled: 1-line block ×3, first 2 shown]
	v_lshrrev_b32_e32 v0, 16, v0
	v_sub_nc_u16 v1, v251, v0
	v_lshrrev_b16 v1, 1, v1
	v_add_nc_u16 v0, v1, v0
	v_lshlrev_b32_e32 v1, 5, v242
	v_lshrrev_b16 v0, 7, v0
	v_add_co_u32 v128, s1, s14, v1
	v_add_co_ci_u32_e64 v129, null, s15, 0, s1
	v_mul_lo_u16 v2, 0xa5, v0
	v_add_co_u32 v0, s1, 0x800, v128
	v_add_co_ci_u32_e64 v1, s1, 0, v129, s1
	v_sub_nc_u16 v130, v251, v2
	global_load_dwordx4 v[112:115], v[0:1], off offset:544
	v_add_co_u32 v0, s1, 0xa20, v128
	v_lshlrev_b16 v2, 5, v130
	v_add_co_ci_u32_e64 v1, s1, 0, v129, s1
	v_and_b32_e32 v2, 0xffff, v2
	global_load_dwordx4 v[116:119], v[0:1], off offset:16
	v_add_co_u32 v2, s1, s14, v2
	v_add_co_ci_u32_e64 v3, null, s15, 0, s1
	v_add_co_u32 v0, s1, 0x800, v2
	v_add_co_ci_u32_e64 v1, s1, 0, v3, s1
	v_add_co_u32 v2, s1, 0xa20, v2
	v_add_co_ci_u32_e64 v3, s1, 0, v3, s1
	s_clause 0x1
	global_load_dwordx4 v[120:123], v[0:1], off offset:544
	global_load_dwordx4 v[124:127], v[2:3], off offset:16
	ds_read_b128 v[131:134], v241 offset:7920
	ds_read_b128 v[135:138], v241 offset:15840
	;; [unrolled: 1-line block ×7, first 2 shown]
	s_waitcnt vmcnt(3) lgkmcnt(6)
	v_mul_f64 v[2:3], v[131:132], v[114:115]
	v_mul_f64 v[0:1], v[133:134], v[114:115]
	s_waitcnt lgkmcnt(4)
	v_mul_f64 v[10:11], v[139:140], v[114:115]
	v_mul_f64 v[8:9], v[141:142], v[114:115]
	s_waitcnt vmcnt(2)
	v_mul_f64 v[6:7], v[135:136], v[118:119]
	v_mul_f64 v[4:5], v[137:138], v[118:119]
	s_waitcnt lgkmcnt(3)
	v_mul_f64 v[14:15], v[143:144], v[118:119]
	v_mul_f64 v[12:13], v[145:146], v[118:119]
	v_fma_f64 v[2:3], v[133:134], v[112:113], v[2:3]
	v_fma_f64 v[0:1], v[131:132], v[112:113], -v[0:1]
	v_fma_f64 v[10:11], v[141:142], v[112:113], v[10:11]
	v_fma_f64 v[8:9], v[139:140], v[112:113], -v[8:9]
	s_waitcnt vmcnt(1) lgkmcnt(1)
	v_mul_f64 v[16:17], v[158:159], v[122:123]
	v_mul_f64 v[18:19], v[156:157], v[122:123]
	s_waitcnt vmcnt(0) lgkmcnt(0)
	v_mul_f64 v[20:21], v[162:163], v[126:127]
	v_mul_f64 v[22:23], v[160:161], v[126:127]
	v_fma_f64 v[6:7], v[137:138], v[116:117], v[6:7]
	v_fma_f64 v[4:5], v[135:136], v[116:117], -v[4:5]
	v_fma_f64 v[14:15], v[145:146], v[116:117], v[14:15]
	v_fma_f64 v[12:13], v[143:144], v[116:117], -v[12:13]
	ds_read_b128 v[131:134], v241
	ds_read_b128 v[135:138], v241 offset:2640
	s_waitcnt lgkmcnt(0)
	s_barrier
	buffer_gl0_inv
	v_fma_f64 v[16:17], v[156:157], v[120:121], -v[16:17]
	v_fma_f64 v[18:19], v[158:159], v[120:121], v[18:19]
	v_fma_f64 v[20:21], v[160:161], v[124:125], -v[20:21]
	v_fma_f64 v[22:23], v[162:163], v[124:125], v[22:23]
	v_add_f64 v[141:142], v[2:3], v[6:7]
	v_add_f64 v[139:140], v[0:1], v[4:5]
	;; [unrolled: 1-line block ×5, first 2 shown]
	v_add_f64 v[0:1], v[0:1], -v[4:5]
	v_add_f64 v[170:171], v[152:153], v[16:17]
	v_add_f64 v[176:177], v[154:155], v[18:19]
	;; [unrolled: 1-line block ×4, first 2 shown]
	v_fma_f64 v[164:165], v[141:142], -0.5, v[133:134]
	v_add_f64 v[133:134], v[133:134], v[2:3]
	v_fma_f64 v[162:163], v[139:140], -0.5, v[131:132]
	v_add_f64 v[139:140], v[135:136], v[8:9]
	;; [unrolled: 2-line block ×3, first 2 shown]
	v_add_f64 v[2:3], v[2:3], -v[6:7]
	v_fma_f64 v[166:167], v[143:144], -0.5, v[135:136]
	v_add_f64 v[10:11], v[10:11], -v[14:15]
	v_add_f64 v[8:9], v[8:9], -v[12:13]
	;; [unrolled: 1-line block ×4, first 2 shown]
	v_add_f64 v[131:132], v[160:161], v[4:5]
	v_mov_b32_e32 v4, 4
	v_lshlrev_b32_sdwa v193, v4, v130 dst_sel:DWORD dst_unused:UNUSED_PAD src0_sel:DWORD src1_sel:WORD_0
	v_add_f64 v[160:161], v[170:171], v[20:21]
	v_fma_f64 v[172:173], v[156:157], -0.5, v[152:153]
	v_fma_f64 v[174:175], v[158:159], -0.5, v[154:155]
	v_fma_f64 v[141:142], v[0:1], s[6:7], v[164:165]
	v_add_f64 v[133:134], v[133:134], v[6:7]
	v_fma_f64 v[145:146], v[0:1], s[4:5], v[164:165]
	v_add_f64 v[135:136], v[139:140], v[12:13]
	v_add_co_u32 v0, s1, 0x1800, v128
	v_add_f64 v[137:138], v[137:138], v[14:15]
	v_fma_f64 v[139:140], v[2:3], s[4:5], v[162:163]
	v_fma_f64 v[143:144], v[2:3], s[6:7], v[162:163]
	;; [unrolled: 1-line block ×6, first 2 shown]
	v_add_f64 v[162:163], v[176:177], v[22:23]
	v_add_co_ci_u32_e64 v1, s1, 0, v129, s1
	v_add_co_u32 v2, s1, 0x1ec0, v128
	v_add_co_ci_u32_e64 v3, s1, 0, v129, s1
	v_fma_f64 v[164:165], v[18:19], s[4:5], v[172:173]
	v_fma_f64 v[166:167], v[16:17], s[6:7], v[174:175]
	;; [unrolled: 1-line block ×4, first 2 shown]
	ds_write_b128 v241, v[131:134]
	ds_write_b128 v241, v[135:138] offset:7920
	ds_write_b128 v241, v[139:142] offset:2640
	;; [unrolled: 1-line block ×8, first 2 shown]
	s_waitcnt lgkmcnt(0)
	s_barrier
	buffer_gl0_inv
	s_clause 0x1
	global_load_dwordx4 v[128:131], v[0:1], off offset:1728
	global_load_dwordx4 v[132:135], v[2:3], off offset:16
	v_lshlrev_b32_e32 v0, 5, v252
	v_add_co_u32 v2, s1, s14, v0
	v_add_co_ci_u32_e64 v3, null, s15, 0, s1
	v_add_co_u32 v0, s1, 0x1800, v2
	v_add_co_ci_u32_e64 v1, s1, 0, v3, s1
	global_load_dwordx4 v[136:139], v[0:1], off offset:1728
	v_add_co_u32 v0, s1, 0x1ec0, v2
	v_add_co_ci_u32_e64 v1, s1, 0, v3, s1
	global_load_dwordx4 v[140:143], v[0:1], off offset:16
	v_lshlrev_b32_e32 v0, 5, v251
	v_add_co_u32 v2, s1, s14, v0
	v_add_co_ci_u32_e64 v3, null, s15, 0, s1
	v_add_co_u32 v0, s1, 0x1800, v2
	v_add_co_ci_u32_e64 v1, s1, 0, v3, s1
	global_load_dwordx4 v[144:147], v[0:1], off offset:1728
	v_add_co_u32 v0, s1, 0x1ec0, v2
	v_add_co_ci_u32_e64 v1, s1, 0, v3, s1
	global_load_dwordx4 v[152:155], v[0:1], off offset:16
	ds_read_b128 v[156:159], v241 offset:7920
	ds_read_b128 v[160:163], v241 offset:15840
	;; [unrolled: 1-line block ×5, first 2 shown]
	s_waitcnt vmcnt(5) lgkmcnt(4)
	v_mul_f64 v[0:1], v[158:159], v[130:131]
	v_mul_f64 v[2:3], v[156:157], v[130:131]
	s_waitcnt vmcnt(4) lgkmcnt(3)
	v_mul_f64 v[4:5], v[162:163], v[134:135]
	v_mul_f64 v[6:7], v[160:161], v[134:135]
	v_fma_f64 v[0:1], v[156:157], v[128:129], -v[0:1]
	v_fma_f64 v[2:3], v[158:159], v[128:129], v[2:3]
	ds_read_b128 v[156:159], v241 offset:13200
	v_fma_f64 v[4:5], v[160:161], v[132:133], -v[4:5]
	v_fma_f64 v[6:7], v[162:163], v[132:133], v[6:7]
	s_waitcnt vmcnt(3) lgkmcnt(2)
	v_mul_f64 v[8:9], v[174:175], v[138:139]
	v_mul_f64 v[10:11], v[172:173], v[138:139]
	s_waitcnt vmcnt(1) lgkmcnt(0)
	v_mul_f64 v[16:17], v[158:159], v[146:147]
	v_mul_f64 v[18:19], v[156:157], v[146:147]
	v_fma_f64 v[8:9], v[172:173], v[136:137], -v[8:9]
	v_fma_f64 v[10:11], v[174:175], v[136:137], v[10:11]
	v_fma_f64 v[16:17], v[156:157], v[144:145], -v[16:17]
	v_fma_f64 v[18:19], v[158:159], v[144:145], v[18:19]
	ds_read_b128 v[156:159], v241 offset:21120
	v_mul_f64 v[12:13], v[170:171], v[142:143]
	v_mul_f64 v[14:15], v[168:169], v[142:143]
	s_waitcnt vmcnt(0) lgkmcnt(0)
	v_mul_f64 v[20:21], v[158:159], v[154:155]
	v_mul_f64 v[22:23], v[156:157], v[154:155]
	v_fma_f64 v[12:13], v[168:169], v[140:141], -v[12:13]
	v_add_f64 v[168:169], v[0:1], v[4:5]
	v_fma_f64 v[14:15], v[170:171], v[140:141], v[14:15]
	v_fma_f64 v[20:21], v[156:157], v[152:153], -v[20:21]
	v_fma_f64 v[22:23], v[158:159], v[152:153], v[22:23]
	ds_read_b128 v[156:159], v241
	ds_read_b128 v[160:163], v241 offset:2640
	s_waitcnt lgkmcnt(1)
	v_fma_f64 v[170:171], v[168:169], -0.5, v[156:157]
	v_add_f64 v[168:169], v[2:3], v[6:7]
	v_add_f64 v[156:157], v[156:157], v[0:1]
	v_add_f64 v[0:1], v[0:1], -v[4:5]
	v_fma_f64 v[174:175], v[168:169], -0.5, v[158:159]
	v_add_f64 v[158:159], v[158:159], v[2:3]
	v_add_f64 v[2:3], v[2:3], -v[6:7]
	v_add_f64 v[156:157], v[156:157], v[4:5]
	s_waitcnt lgkmcnt(0)
	v_add_f64 v[4:5], v[162:163], v[10:11]
	v_add_f64 v[158:159], v[158:159], v[6:7]
	v_fma_f64 v[168:169], v[2:3], s[4:5], v[170:171]
	v_fma_f64 v[172:173], v[2:3], s[6:7], v[170:171]
	;; [unrolled: 1-line block ×4, first 2 shown]
	v_add_f64 v[0:1], v[8:9], v[12:13]
	v_add_f64 v[2:3], v[10:11], v[14:15]
	v_add_f64 v[10:11], v[10:11], -v[14:15]
	v_add_f64 v[6:7], v[160:161], v[8:9]
	v_fma_f64 v[0:1], v[0:1], -0.5, v[160:161]
	v_fma_f64 v[2:3], v[2:3], -0.5, v[162:163]
	v_add_f64 v[162:163], v[4:5], v[14:15]
	v_add_f64 v[4:5], v[8:9], -v[12:13]
	v_add_f64 v[160:161], v[6:7], v[12:13]
	v_add_f64 v[6:7], v[164:165], v[16:17]
	v_add_f64 v[8:9], v[18:19], -v[22:23]
	ds_write_b128 v241, v[156:159]
	ds_write_b128 v241, v[160:163] offset:2640
	v_fma_f64 v[176:177], v[10:11], s[4:5], v[0:1]
	v_fma_f64 v[180:181], v[10:11], s[6:7], v[0:1]
	;; [unrolled: 1-line block ×4, first 2 shown]
	v_add_f64 v[0:1], v[16:17], v[20:21]
	v_add_f64 v[2:3], v[18:19], v[22:23]
	;; [unrolled: 1-line block ×3, first 2 shown]
	v_fma_f64 v[0:1], v[0:1], -0.5, v[164:165]
	v_fma_f64 v[2:3], v[2:3], -0.5, v[166:167]
	v_add_f64 v[166:167], v[4:5], v[22:23]
	v_add_f64 v[4:5], v[16:17], -v[20:21]
	v_add_f64 v[164:165], v[6:7], v[20:21]
	v_fma_f64 v[184:185], v[8:9], s[4:5], v[0:1]
	v_fma_f64 v[188:189], v[8:9], s[6:7], v[0:1]
	v_lshlrev_b32_e32 v0, 4, v242
	v_fma_f64 v[186:187], v[4:5], s[6:7], v[2:3]
	v_fma_f64 v[190:191], v[4:5], s[4:5], v[2:3]
	ds_write_b128 v241, v[164:167] offset:5280
	ds_write_b128 v241, v[168:171] offset:7920
	;; [unrolled: 1-line block ×7, first 2 shown]
	v_add_co_u32 v6, s1, s12, v0
	v_add_co_ci_u32_e64 v7, null, s13, 0, s1
	s_waitcnt lgkmcnt(0)
	v_add_co_u32 v0, s1, 0x5800, v6
	v_add_co_ci_u32_e64 v1, s1, 0, v7, s1
	s_barrier
	buffer_gl0_inv
	global_load_dwordx4 v[156:159], v[0:1], off offset:1232
	v_add_co_u32 v0, s1, 0x7800, v6
	v_add_co_ci_u32_e64 v1, s1, 0, v7, s1
	v_add_co_u32 v4, s1, 0x9800, v6
	v_add_co_ci_u32_e64 v5, s1, 0, v7, s1
	global_load_dwordx4 v[160:163], v[0:1], off offset:960
	ds_read_b128 v[164:167], v241
	ds_read_b128 v[168:171], v241 offset:2640
	ds_read_b128 v[172:175], v241 offset:7920
	s_waitcnt vmcnt(1) lgkmcnt(2)
	v_mul_f64 v[0:1], v[166:167], v[158:159]
	v_mul_f64 v[2:3], v[164:165], v[158:159]
	v_fma_f64 v[164:165], v[164:165], v[156:157], -v[0:1]
	v_fma_f64 v[166:167], v[166:167], v[156:157], v[2:3]
	ds_read_b128 v[156:159], v241 offset:5280
	s_waitcnt vmcnt(0) lgkmcnt(1)
	v_mul_f64 v[0:1], v[174:175], v[162:163]
	v_mul_f64 v[2:3], v[172:173], v[162:163]
	v_fma_f64 v[172:173], v[172:173], v[160:161], -v[0:1]
	v_fma_f64 v[174:175], v[174:175], v[160:161], v[2:3]
	global_load_dwordx4 v[160:163], v[4:5], off offset:688
	v_add_co_u32 v0, s1, 0x6000, v6
	v_add_co_ci_u32_e64 v1, s1, 0, v7, s1
	global_load_dwordx4 v[176:179], v[0:1], off offset:1824
	ds_read_b128 v[180:183], v241 offset:15840
	ds_read_b128 v[184:187], v241 offset:18480
	s_waitcnt vmcnt(1) lgkmcnt(1)
	v_mul_f64 v[0:1], v[182:183], v[162:163]
	v_mul_f64 v[2:3], v[180:181], v[162:163]
	v_fma_f64 v[180:181], v[180:181], v[160:161], -v[0:1]
	s_waitcnt vmcnt(0)
	v_mul_f64 v[0:1], v[170:171], v[178:179]
	v_fma_f64 v[182:183], v[182:183], v[160:161], v[2:3]
	v_mul_f64 v[2:3], v[168:169], v[178:179]
	v_fma_f64 v[160:161], v[168:169], v[176:177], -v[0:1]
	v_add_co_u32 v0, s1, 0x8000, v6
	v_add_co_ci_u32_e64 v1, s1, 0, v7, s1
	v_fma_f64 v[162:163], v[170:171], v[176:177], v[2:3]
	v_add_co_u32 v2, s1, 0xa000, v6
	v_add_co_ci_u32_e64 v3, s1, 0, v7, s1
	s_clause 0x1
	global_load_dwordx4 v[168:171], v[0:1], off offset:1552
	global_load_dwordx4 v[176:179], v[2:3], off offset:1280
	ds_read_b128 v[188:191], v241 offset:10560
	ds_read_b128 v[194:197], v241 offset:13200
	s_waitcnt vmcnt(1) lgkmcnt(1)
	v_mul_f64 v[0:1], v[190:191], v[170:171]
	v_mul_f64 v[2:3], v[188:189], v[170:171]
	v_fma_f64 v[188:189], v[188:189], v[168:169], -v[0:1]
	s_waitcnt vmcnt(0)
	v_mul_f64 v[0:1], v[186:187], v[178:179]
	v_fma_f64 v[190:191], v[190:191], v[168:169], v[2:3]
	v_mul_f64 v[2:3], v[184:185], v[178:179]
	v_fma_f64 v[168:169], v[184:185], v[176:177], -v[0:1]
	v_add_co_u32 v0, s1, 0x7000, v6
	v_add_co_ci_u32_e64 v1, s1, 0, v7, s1
	v_fma_f64 v[170:171], v[186:187], v[176:177], v[2:3]
	v_add_co_u32 v2, s1, 0x9000, v6
	v_add_co_ci_u32_e64 v3, s1, 0, v7, s1
	s_clause 0x1
	global_load_dwordx4 v[176:179], v[0:1], off offset:368
	global_load_dwordx4 v[184:187], v[2:3], off offset:96
	s_waitcnt vmcnt(1)
	v_mul_f64 v[0:1], v[158:159], v[178:179]
	v_mul_f64 v[2:3], v[156:157], v[178:179]
	v_fma_f64 v[156:157], v[156:157], v[176:177], -v[0:1]
	s_waitcnt vmcnt(0) lgkmcnt(0)
	v_mul_f64 v[0:1], v[196:197], v[186:187]
	v_fma_f64 v[158:159], v[158:159], v[176:177], v[2:3]
	v_mul_f64 v[2:3], v[194:195], v[186:187]
	v_fma_f64 v[176:177], v[194:195], v[184:185], -v[0:1]
	v_add_co_u32 v0, s1, 0xa800, v6
	v_add_co_ci_u32_e64 v1, s1, 0, v7, s1
	v_fma_f64 v[178:179], v[196:197], v[184:185], v[2:3]
	ds_read_b128 v[194:197], v241 offset:21120
	global_load_dwordx4 v[184:187], v[0:1], off offset:1872
	s_waitcnt vmcnt(0) lgkmcnt(0)
	v_mul_f64 v[0:1], v[196:197], v[186:187]
	v_mul_f64 v[2:3], v[194:195], v[186:187]
	v_fma_f64 v[194:195], v[194:195], v[184:185], -v[0:1]
	v_fma_f64 v[196:197], v[196:197], v[184:185], v[2:3]
	ds_write_b128 v241, v[164:167]
	ds_write_b128 v241, v[172:175] offset:7920
	ds_write_b128 v241, v[180:183] offset:15840
	ds_write_b128 v241, v[160:163] offset:2640
	ds_write_b128 v241, v[188:191] offset:10560
	ds_write_b128 v241, v[168:171] offset:18480
	ds_write_b128 v241, v[156:159] offset:5280
	ds_write_b128 v241, v[176:179] offset:13200
	ds_write_b128 v241, v[194:197] offset:21120
	s_waitcnt lgkmcnt(0)
	s_barrier
	buffer_gl0_inv
	ds_read_b128 v[156:159], v241 offset:7920
	ds_read_b128 v[160:163], v241
	ds_read_b128 v[164:167], v241 offset:15840
	ds_read_b128 v[168:171], v241 offset:2640
	;; [unrolled: 1-line block ×4, first 2 shown]
	s_waitcnt lgkmcnt(4)
	v_add_f64 v[0:1], v[160:161], v[156:157]
	v_add_f64 v[2:3], v[162:163], v[158:159]
	s_waitcnt lgkmcnt(3)
	v_add_f64 v[4:5], v[156:157], v[164:165]
	v_add_f64 v[6:7], v[158:159], v[166:167]
	v_add_f64 v[8:9], v[158:159], -v[166:167]
	v_add_f64 v[10:11], v[156:157], -v[164:165]
	v_add_f64 v[180:181], v[0:1], v[164:165]
	v_add_f64 v[182:183], v[2:3], v[166:167]
	ds_read_b128 v[156:159], v241 offset:10560
	ds_read_b128 v[164:167], v241 offset:13200
	s_waitcnt lgkmcnt(1)
	v_add_f64 v[0:1], v[168:169], v[156:157]
	v_add_f64 v[2:3], v[170:171], v[158:159]
	;; [unrolled: 1-line block ×4, first 2 shown]
	v_add_f64 v[16:17], v[158:159], -v[178:179]
	v_add_f64 v[18:19], v[156:157], -v[176:177]
	ds_read_b128 v[156:159], v241 offset:21120
	s_waitcnt lgkmcnt(0)
	s_barrier
	buffer_gl0_inv
	v_add_f64 v[176:177], v[0:1], v[176:177]
	v_add_f64 v[178:179], v[2:3], v[178:179]
	;; [unrolled: 1-line block ×6, first 2 shown]
	v_add_f64 v[194:195], v[166:167], -v[158:159]
	v_add_f64 v[196:197], v[164:165], -v[156:157]
	v_add_f64 v[164:165], v[0:1], v[156:157]
	v_add_f64 v[166:167], v[2:3], v[158:159]
	v_fma_f64 v[0:1], v[4:5], -0.5, v[160:161]
	v_fma_f64 v[2:3], v[6:7], -0.5, v[162:163]
	;; [unrolled: 1-line block ×6, first 2 shown]
	v_fma_f64 v[160:161], v[8:9], s[6:7], v[0:1]
	v_fma_f64 v[162:163], v[10:11], s[4:5], v[2:3]
	;; [unrolled: 1-line block ×4, first 2 shown]
	ds_write_b128 v249, v[180:183]
	ds_write_b128 v249, v[160:163] offset:16
	ds_write_b128 v249, v[184:187] offset:32
	buffer_load_dword v0, off, s[44:47], 0 offset:88 ; 4-byte Folded Reload
	v_fma_f64 v[188:189], v[16:17], s[6:7], v[4:5]
	v_fma_f64 v[190:191], v[18:19], s[4:5], v[6:7]
	v_fma_f64 v[156:157], v[16:17], s[4:5], v[4:5]
	v_fma_f64 v[158:159], v[18:19], s[6:7], v[6:7]
	v_fma_f64 v[168:169], v[194:195], s[6:7], v[12:13]
	v_fma_f64 v[170:171], v[196:197], s[4:5], v[14:15]
	v_fma_f64 v[172:173], v[194:195], s[4:5], v[12:13]
	v_fma_f64 v[174:175], v[196:197], s[6:7], v[14:15]
	s_waitcnt vmcnt(0)
	ds_write_b128 v0, v[176:179]
	ds_write_b128 v0, v[188:191] offset:16
	ds_write_b128 v0, v[156:159] offset:32
	ds_write_b128 v255, v[164:167]
	ds_write_b128 v255, v[168:171] offset:16
	ds_write_b128 v255, v[172:175] offset:32
	s_waitcnt lgkmcnt(0)
	s_barrier
	buffer_gl0_inv
	ds_read_b128 v[160:163], v241
	ds_read_b128 v[188:191], v241 offset:4752
	ds_read_b128 v[184:187], v241 offset:9504
	;; [unrolled: 1-line block ×4, first 2 shown]
	s_and_saveexec_b32 s1, vcc_lo
	s_cbranch_execz .LBB0_11
; %bb.10:
	ds_read_b128 v[156:159], v241 offset:2640
	ds_read_b128 v[164:167], v241 offset:7392
	;; [unrolled: 1-line block ×5, first 2 shown]
.LBB0_11:
	s_or_b32 exec_lo, exec_lo, s1
	s_waitcnt lgkmcnt(3)
	v_mul_f64 v[0:1], v[66:67], v[190:191]
	v_mul_f64 v[2:3], v[66:67], v[188:189]
	s_waitcnt lgkmcnt(2)
	v_mul_f64 v[4:5], v[62:63], v[186:187]
	v_mul_f64 v[6:7], v[62:63], v[184:185]
	s_waitcnt lgkmcnt(1)
	v_mul_f64 v[8:9], v[54:55], v[178:179]
	s_waitcnt lgkmcnt(0)
	v_mul_f64 v[10:11], v[58:59], v[180:181]
	v_mul_f64 v[12:13], v[58:59], v[182:183]
	;; [unrolled: 1-line block ×11, first 2 shown]
	s_mov_b32 s6, 0x134454ff
	s_mov_b32 s7, 0xbfee6f0e
	;; [unrolled: 1-line block ×6, first 2 shown]
	v_fma_f64 v[0:1], v[64:65], v[188:189], v[0:1]
	v_fma_f64 v[2:3], v[64:65], v[190:191], -v[2:3]
	v_fma_f64 v[4:5], v[60:61], v[184:185], v[4:5]
	v_fma_f64 v[6:7], v[60:61], v[186:187], -v[6:7]
	;; [unrolled: 2-line block ×4, first 2 shown]
	v_fma_f64 v[16:17], v[36:37], v[164:165], v[16:17]
	v_fma_f64 v[18:19], v[48:49], v[168:169], v[18:19]
	;; [unrolled: 1-line block ×3, first 2 shown]
	v_fma_f64 v[22:23], v[36:37], v[166:167], -v[22:23]
	v_fma_f64 v[38:39], v[48:49], v[170:171], -v[38:39]
	v_fma_f64 v[56:57], v[40:41], v[148:149], v[50:51]
	v_fma_f64 v[44:45], v[44:45], v[174:175], -v[46:47]
	v_fma_f64 v[58:59], v[40:41], v[150:151], -v[42:43]
	s_mov_b32 s13, 0x3fe2cf23
	s_mov_b32 s12, s4
	s_barrier
	buffer_gl0_inv
	v_add_f64 v[36:37], v[160:161], v[0:1]
	v_add_f64 v[66:67], v[162:163], v[2:3]
	v_add_f64 v[50:51], v[0:1], -v[4:5]
	v_add_f64 v[60:61], v[4:5], -v[0:1]
	v_add_f64 v[40:41], v[4:5], v[8:9]
	v_add_f64 v[62:63], v[2:3], v[10:11]
	;; [unrolled: 1-line block ×4, first 2 shown]
	v_add_f64 v[42:43], v[2:3], -v[10:11]
	v_add_f64 v[48:49], v[6:7], -v[14:15]
	v_add_f64 v[148:149], v[18:19], v[20:21]
	v_add_f64 v[54:55], v[12:13], -v[8:9]
	v_add_f64 v[64:65], v[8:9], -v[12:13]
	v_add_f64 v[166:167], v[16:17], v[56:57]
	v_add_f64 v[170:171], v[38:39], v[44:45]
	;; [unrolled: 1-line block ×3, first 2 shown]
	v_add_f64 v[0:1], v[0:1], -v[12:13]
	v_add_f64 v[150:151], v[4:5], -v[8:9]
	v_add_f64 v[176:177], v[156:157], v[16:17]
	v_add_f64 v[178:179], v[22:23], -v[58:59]
	v_add_f64 v[180:181], v[16:17], -v[18:19]
	;; [unrolled: 1-line block ×3, first 2 shown]
	v_add_f64 v[186:187], v[158:159], v[22:23]
	v_add_f64 v[16:17], v[16:17], -v[56:57]
	v_add_f64 v[188:189], v[18:19], -v[20:21]
	v_add_f64 v[4:5], v[36:37], v[4:5]
	v_fma_f64 v[40:41], v[40:41], -0.5, v[160:161]
	v_fma_f64 v[62:63], v[62:63], -0.5, v[162:163]
	;; [unrolled: 1-line block ×3, first 2 shown]
	v_add_f64 v[160:161], v[38:39], -v[44:45]
	v_fma_f64 v[52:53], v[52:53], -0.5, v[162:163]
	v_add_f64 v[164:165], v[2:3], -v[6:7]
	v_fma_f64 v[148:149], v[148:149], -0.5, v[156:157]
	v_add_f64 v[168:169], v[10:11], -v[14:15]
	v_add_f64 v[2:3], v[6:7], -v[2:3]
	v_fma_f64 v[156:157], v[166:167], -0.5, v[156:157]
	v_fma_f64 v[166:167], v[170:171], -0.5, v[158:159]
	v_fma_f64 v[158:159], v[174:175], -0.5, v[158:159]
	v_add_f64 v[172:173], v[14:15], -v[10:11]
	v_add_f64 v[182:183], v[56:57], -v[20:21]
	;; [unrolled: 1-line block ×7, first 2 shown]
	v_add_f64 v[6:7], v[66:67], v[6:7]
	v_add_f64 v[50:51], v[50:51], v[54:55]
	;; [unrolled: 1-line block ×3, first 2 shown]
	v_fma_f64 v[174:175], v[42:43], s[6:7], v[40:41]
	v_fma_f64 v[40:41], v[42:43], s[14:15], v[40:41]
	;; [unrolled: 1-line block ×8, first 2 shown]
	v_add_f64 v[18:19], v[176:177], v[18:19]
	v_fma_f64 v[64:65], v[178:179], s[6:7], v[148:149]
	v_add_f64 v[38:39], v[186:187], v[38:39]
	v_fma_f64 v[148:149], v[178:179], s[14:15], v[148:149]
	v_fma_f64 v[176:177], v[160:161], s[14:15], v[156:157]
	v_add_f64 v[4:5], v[4:5], v[8:9]
	v_fma_f64 v[8:9], v[160:161], s[6:7], v[156:157]
	v_fma_f64 v[156:157], v[16:17], s[14:15], v[166:167]
	;; [unrolled: 1-line block ×5, first 2 shown]
	v_add_f64 v[6:7], v[6:7], v[14:15]
	v_add_f64 v[2:3], v[2:3], v[172:173]
	;; [unrolled: 1-line block ×3, first 2 shown]
	v_fma_f64 v[174:175], v[48:49], s[4:5], v[174:175]
	v_fma_f64 v[40:41], v[48:49], s[12:13], v[40:41]
	;; [unrolled: 1-line block ×5, first 2 shown]
	v_add_f64 v[66:67], v[164:165], v[168:169]
	v_fma_f64 v[150:151], v[150:151], s[4:5], v[52:53]
	v_fma_f64 v[164:165], v[0:1], s[12:13], v[54:55]
	;; [unrolled: 1-line block ×3, first 2 shown]
	v_add_f64 v[18:19], v[18:19], v[20:21]
	v_fma_f64 v[20:21], v[160:161], s[4:5], v[64:65]
	v_add_f64 v[62:63], v[180:181], v[182:183]
	v_fma_f64 v[64:65], v[160:161], s[12:13], v[148:149]
	v_fma_f64 v[148:149], v[178:179], s[4:5], v[176:177]
	v_add_f64 v[160:161], v[184:185], v[162:163]
	v_fma_f64 v[8:9], v[178:179], s[12:13], v[8:9]
	v_add_f64 v[162:163], v[38:39], v[44:45]
	v_fma_f64 v[168:169], v[188:189], s[12:13], v[156:157]
	v_fma_f64 v[166:167], v[188:189], s[4:5], v[166:167]
	;; [unrolled: 1-line block ×3, first 2 shown]
	v_add_f64 v[22:23], v[22:23], v[170:171]
	v_fma_f64 v[16:17], v[16:17], s[4:5], v[158:159]
	s_mov_b32 s4, 0x372fe950
	s_mov_b32 s5, 0x3fd3c6ef
	v_add_f64 v[36:37], v[4:5], v[12:13]
	v_fma_f64 v[44:45], v[50:51], s[4:5], v[174:175]
	v_fma_f64 v[52:53], v[50:51], s[4:5], v[40:41]
	v_fma_f64 v[40:41], v[60:61], s[4:5], v[48:49]
	v_fma_f64 v[48:49], v[60:61], s[4:5], v[42:43]
	v_add_f64 v[38:39], v[6:7], v[10:11]
	v_fma_f64 v[46:47], v[66:67], s[4:5], v[14:15]
	v_fma_f64 v[54:55], v[66:67], s[4:5], v[150:151]
	v_fma_f64 v[42:43], v[2:3], s[4:5], v[164:165]
	v_fma_f64 v[50:51], v[2:3], s[4:5], v[0:1]
	;; [unrolled: 5-line block ×4, first 2 shown]
	ds_write_b128 v250, v[36:39]
	ds_write_b128 v250, v[44:47] offset:48
	ds_write_b128 v250, v[40:43] offset:96
	;; [unrolled: 1-line block ×4, first 2 shown]
	s_and_saveexec_b32 s1, vcc_lo
	s_cbranch_execz .LBB0_13
; %bb.12:
	s_clause 0x1
	buffer_load_dword v0, off, s[44:47], 0 offset:80
	buffer_load_dword v1, off, s[44:47], 0 offset:84
	s_waitcnt vmcnt(0)
	v_mad_u16 v0, v0, 15, v1
	v_mov_b32_e32 v1, 4
	v_lshlrev_b32_sdwa v0, v1, v0 dst_sel:DWORD dst_unused:UNUSED_PAD src0_sel:DWORD src1_sel:WORD_0
	ds_write_b128 v0, v[56:59]
	ds_write_b128 v0, v[60:63] offset:48
	ds_write_b128 v0, v[64:67] offset:96
	;; [unrolled: 1-line block ×4, first 2 shown]
.LBB0_13:
	s_or_b32 exec_lo, exec_lo, s1
	s_waitcnt lgkmcnt(0)
	s_barrier
	buffer_gl0_inv
	s_and_saveexec_b32 s1, s0
	s_cbranch_execz .LBB0_15
; %bb.14:
	ds_read_b128 v[36:39], v241
	ds_read_b128 v[44:47], v241 offset:2160
	ds_read_b128 v[40:43], v241 offset:4320
	;; [unrolled: 1-line block ×10, first 2 shown]
.LBB0_15:
	s_or_b32 exec_lo, exec_lo, s1
	s_waitcnt lgkmcnt(0)
	s_barrier
	buffer_gl0_inv
	s_and_saveexec_b32 s33, s0
	s_cbranch_execz .LBB0_17
; %bb.16:
	v_mul_f64 v[0:1], v[70:71], v[46:47]
	v_mul_f64 v[2:3], v[78:79], v[110:111]
	v_mul_f64 v[4:5], v[102:103], v[58:59]
	v_mul_f64 v[6:7], v[106:107], v[62:63]
	v_mul_f64 v[8:9], v[102:103], v[56:57]
	v_mul_f64 v[10:11], v[106:107], v[60:61]
	v_mul_f64 v[12:13], v[90:91], v[54:55]
	v_mul_f64 v[16:17], v[90:91], v[52:53]
	v_mul_f64 v[20:21], v[74:75], v[42:43]
	v_mul_f64 v[22:23], v[82:83], v[158:159]
	v_mul_f64 v[90:91], v[70:71], v[44:45]
	v_mul_f64 v[78:79], v[78:79], v[108:109]
	v_mul_f64 v[14:15], v[98:99], v[66:67]
	v_mul_f64 v[18:19], v[98:99], v[64:65]
	v_mul_f64 v[98:99], v[94:95], v[150:151]
	v_mul_f64 v[74:75], v[74:75], v[40:41]
	v_mul_f64 v[82:83], v[82:83], v[156:157]
	s_mov_b32 s22, 0xfd768dbf
	s_mov_b32 s23, 0xbfd207e7
	v_mul_f64 v[94:95], v[94:95], v[148:149]
	s_mov_b32 s18, 0xbb3a28a1
	s_mov_b32 s14, 0xf8bb580b
	v_fma_f64 v[0:1], v[68:69], v[44:45], v[0:1]
	v_fma_f64 v[44:45], v[76:77], v[108:109], v[2:3]
	v_mul_f64 v[2:3], v[86:87], v[50:51]
	v_mul_f64 v[86:87], v[86:87], v[48:49]
	v_fma_f64 v[70:71], v[100:101], v[56:57], v[4:5]
	v_fma_f64 v[60:61], v[104:105], v[60:61], v[6:7]
	v_fma_f64 v[8:9], v[100:101], v[58:59], -v[8:9]
	v_fma_f64 v[58:59], v[104:105], v[62:63], -v[10:11]
	v_fma_f64 v[4:5], v[72:73], v[40:41], v[20:21]
	v_fma_f64 v[56:57], v[80:81], v[156:157], v[22:23]
	v_fma_f64 v[6:7], v[68:69], v[46:47], -v[90:91]
	v_fma_f64 v[40:41], v[76:77], v[110:111], -v[78:79]
	;; [unrolled: 4-line block ×3, first 2 shown]
	v_fma_f64 v[46:47], v[92:93], v[148:149], v[98:99]
	v_fma_f64 v[18:19], v[72:73], v[42:43], -v[74:75]
	v_fma_f64 v[42:43], v[80:81], v[158:159], -v[82:83]
	s_mov_b32 s6, 0x9bcd5057
	s_mov_b32 s19, 0xbfe82f19
	;; [unrolled: 1-line block ×4, first 2 shown]
	v_add_f64 v[10:11], v[0:1], -v[44:45]
	v_fma_f64 v[2:3], v[84:85], v[48:49], v[2:3]
	v_fma_f64 v[16:17], v[84:85], v[50:51], -v[86:87]
	v_fma_f64 v[48:49], v[92:93], v[150:151], -v[94:95]
	v_add_f64 v[90:91], v[0:1], v[44:45]
	s_mov_b32 s16, 0x43842ef
	s_mov_b32 s4, 0x7f775887
	;; [unrolled: 1-line block ×3, first 2 shown]
	v_add_f64 v[20:21], v[4:5], -v[56:57]
	s_mov_b32 s17, 0xbfefac9e
	v_add_f64 v[22:23], v[6:7], -v[40:41]
	v_add_f64 v[62:63], v[6:7], v[40:41]
	s_mov_b32 s5, 0xbfe4f49e
	s_mov_b32 s13, 0x3feaeb8c
	;; [unrolled: 1-line block ×4, first 2 shown]
	v_add_f64 v[66:67], v[12:13], -v[52:53]
	v_add_f64 v[78:79], v[18:19], -v[42:43]
	v_add_f64 v[86:87], v[18:19], v[42:43]
	v_add_f64 v[102:103], v[4:5], v[56:57]
	s_mov_b32 s0, 0x640f44db
	s_mov_b32 s1, 0xbfc2375f
	v_mul_f64 v[50:51], v[10:11], s[22:23]
	v_add_f64 v[68:69], v[2:3], -v[46:47]
	v_mul_f64 v[148:149], v[10:11], s[18:19]
	v_add_f64 v[76:77], v[16:17], -v[48:49]
	v_add_f64 v[84:85], v[16:17], v[48:49]
	v_mul_f64 v[186:187], v[10:11], s[16:17]
	s_mov_b32 s25, 0x3fed1bb4
	s_mov_b32 s24, 0x8eee2c13
	v_mul_f64 v[92:93], v[20:21], s[14:15]
	v_mul_f64 v[168:169], v[20:21], s[26:27]
	;; [unrolled: 1-line block ×5, first 2 shown]
	s_mov_b32 s29, 0xbfe14ced
	s_mov_b32 s31, 0x3fd207e7
	;; [unrolled: 1-line block ×4, first 2 shown]
	v_mul_f64 v[158:159], v[78:79], s[14:15]
	v_add_f64 v[64:65], v[70:71], -v[60:61]
	v_add_f64 v[74:75], v[14:15], -v[54:55]
	v_add_f64 v[82:83], v[14:15], v[54:55]
	v_add_f64 v[98:99], v[2:3], v[46:47]
	v_fma_f64 v[100:101], v[62:63], s[6:7], v[50:51]
	v_mul_f64 v[108:109], v[68:69], s[18:19]
	v_fma_f64 v[50:51], v[62:63], s[6:7], -v[50:51]
	v_fma_f64 v[190:191], v[62:63], s[4:5], v[148:149]
	v_add_f64 v[6:7], v[38:39], v[6:7]
	v_add_f64 v[0:1], v[36:37], v[0:1]
	v_mul_f64 v[106:107], v[66:67], s[24:25]
	v_mul_f64 v[156:157], v[76:77], s[18:19]
	v_fma_f64 v[172:173], v[86:87], s[12:13], v[92:93]
	v_mul_f64 v[164:165], v[68:69], s[28:29]
	v_fma_f64 v[174:175], v[90:91], s[6:7], -v[94:95]
	v_fma_f64 v[94:95], v[90:91], s[6:7], v[94:95]
	v_mul_f64 v[180:181], v[78:79], s[26:27]
	v_mul_f64 v[188:189], v[20:21], s[30:31]
	;; [unrolled: 1-line block ×3, first 2 shown]
	v_fma_f64 v[206:207], v[90:91], s[4:5], -v[166:167]
	v_fma_f64 v[92:93], v[86:87], s[12:13], -v[92:93]
	;; [unrolled: 1-line block ×3, first 2 shown]
	v_fma_f64 v[158:159], v[102:103], s[12:13], v[158:159]
	v_fma_f64 v[148:149], v[62:63], s[4:5], -v[148:149]
	v_fma_f64 v[166:167], v[90:91], s[4:5], v[166:167]
	v_fma_f64 v[208:209], v[86:87], s[0:1], v[168:169]
	v_add_f64 v[100:101], v[38:39], v[100:101]
	v_fma_f64 v[202:203], v[84:85], s[4:5], v[108:109]
	v_add_f64 v[50:51], v[38:39], v[50:51]
	v_add_f64 v[190:191], v[38:39], v[190:191]
	v_fma_f64 v[214:215], v[90:91], s[0:1], -v[200:201]
	s_mov_b32 s20, 0xd9c712b6
	s_mov_b32 s21, 0x3fda9628
	v_add_f64 v[80:81], v[8:9], v[58:59]
	v_add_f64 v[96:97], v[12:13], v[52:53]
	v_mul_f64 v[104:105], v[64:65], s[16:17]
	v_add_f64 v[174:175], v[36:37], v[174:175]
	v_add_f64 v[94:95], v[36:37], v[94:95]
	v_mul_f64 v[150:151], v[74:75], s[24:25]
	v_mul_f64 v[178:179], v[76:77], s[28:29]
	;; [unrolled: 1-line block ×4, first 2 shown]
	v_add_f64 v[6:7], v[6:7], v[18:19]
	v_add_f64 v[0:1], v[0:1], v[4:5]
	v_fma_f64 v[18:19], v[82:83], s[20:21], v[106:107]
	v_fma_f64 v[212:213], v[98:99], s[4:5], -v[156:157]
	v_fma_f64 v[108:109], v[84:85], s[4:5], -v[108:109]
	v_fma_f64 v[156:157], v[98:99], s[4:5], v[156:157]
	v_add_f64 v[100:101], v[172:173], v[100:101]
	v_fma_f64 v[172:173], v[62:63], s[0:1], v[186:187]
	v_fma_f64 v[216:217], v[102:103], s[0:1], -v[180:181]
	v_add_f64 v[206:207], v[36:37], v[206:207]
	v_fma_f64 v[168:169], v[86:87], s[0:1], -v[168:169]
	v_fma_f64 v[180:181], v[102:103], s[0:1], v[180:181]
	v_add_f64 v[148:149], v[38:39], v[148:149]
	v_add_f64 v[50:51], v[92:93], v[50:51]
	;; [unrolled: 1-line block ×6, first 2 shown]
	v_fma_f64 v[204:205], v[102:103], s[6:7], -v[198:199]
	v_add_f64 v[72:73], v[8:9], -v[58:59]
	v_mul_f64 v[162:163], v[66:67], s[22:23]
	v_mul_f64 v[176:177], v[74:75], s[22:23]
	;; [unrolled: 1-line block ×4, first 2 shown]
	v_fma_f64 v[4:5], v[80:81], s[0:1], v[104:105]
	v_fma_f64 v[158:159], v[96:97], s[20:21], -v[150:151]
	v_fma_f64 v[106:107], v[82:83], s[20:21], -v[106:107]
	v_fma_f64 v[150:151], v[96:97], s[20:21], v[150:151]
	v_add_f64 v[94:95], v[202:203], v[100:101]
	v_add_f64 v[100:101], v[36:37], v[166:167]
	v_fma_f64 v[166:167], v[86:87], s[6:7], v[188:189]
	v_add_f64 v[172:173], v[38:39], v[172:173]
	v_fma_f64 v[202:203], v[84:85], s[12:13], v[164:165]
	v_fma_f64 v[214:215], v[98:99], s[12:13], -v[178:179]
	v_fma_f64 v[164:165], v[84:85], s[12:13], -v[164:165]
	v_add_f64 v[206:207], v[216:217], v[206:207]
	v_fma_f64 v[178:179], v[98:99], s[12:13], v[178:179]
	v_add_f64 v[148:149], v[168:169], v[148:149]
	v_add_f64 v[168:169], v[212:213], v[174:175]
	;; [unrolled: 1-line block ×4, first 2 shown]
	v_fma_f64 v[156:157], v[90:91], s[0:1], v[200:201]
	v_fma_f64 v[174:175], v[84:85], s[20:21], v[184:185]
	v_add_f64 v[200:201], v[204:205], v[208:209]
	v_add_f64 v[6:7], v[6:7], v[16:17]
	;; [unrolled: 1-line block ×3, first 2 shown]
	v_mul_f64 v[160:161], v[64:65], s[24:25]
	v_mul_f64 v[170:171], v[72:73], s[24:25]
	s_mov_b32 s25, 0xbfed1bb4
	v_add_f64 v[88:89], v[70:71], v[60:61]
	v_add_f64 v[18:19], v[18:19], v[94:95]
	;; [unrolled: 1-line block ×3, first 2 shown]
	v_fma_f64 v[186:187], v[62:63], s[0:1], -v[186:187]
	v_add_f64 v[166:167], v[166:167], v[172:173]
	v_add_f64 v[180:181], v[202:203], v[190:191]
	v_fma_f64 v[190:191], v[98:99], s[20:21], -v[196:197]
	v_fma_f64 v[108:109], v[82:83], s[6:7], v[162:163]
	v_fma_f64 v[172:173], v[96:97], s[6:7], -v[176:177]
	v_fma_f64 v[162:163], v[82:83], s[6:7], -v[162:163]
	v_add_f64 v[16:17], v[214:215], v[206:207]
	v_add_f64 v[148:149], v[164:165], v[148:149]
	;; [unrolled: 1-line block ×5, first 2 shown]
	v_fma_f64 v[156:157], v[82:83], s[12:13], v[182:183]
	v_fma_f64 v[176:177], v[96:97], s[6:7], v[176:177]
	v_add_f64 v[6:7], v[6:7], v[14:15]
	v_add_f64 v[0:1], v[0:1], v[12:13]
	v_mul_f64 v[12:13], v[22:23], s[28:29]
	v_mul_f64 v[14:15], v[22:23], s[24:25]
	v_fma_f64 v[188:189], v[86:87], s[6:7], -v[188:189]
	v_fma_f64 v[100:101], v[80:81], s[20:21], v[160:161]
	v_add_f64 v[50:51], v[4:5], v[18:19]
	v_add_f64 v[4:5], v[178:179], v[94:95]
	v_fma_f64 v[94:95], v[102:103], s[6:7], v[198:199]
	v_add_f64 v[164:165], v[174:175], v[166:167]
	v_mul_f64 v[166:167], v[10:11], s[24:25]
	v_fma_f64 v[174:175], v[96:97], s[12:13], -v[194:195]
	v_add_f64 v[178:179], v[190:191], v[200:201]
	v_mul_f64 v[10:11], v[10:11], s[28:29]
	v_add_f64 v[2:3], v[38:39], v[186:187]
	v_add_f64 v[108:109], v[108:109], v[180:181]
	v_fma_f64 v[180:181], v[88:89], s[20:21], -v[170:171]
	v_add_f64 v[16:17], v[172:173], v[16:17]
	v_add_f64 v[148:149], v[162:163], v[148:149]
	v_fma_f64 v[162:163], v[88:89], s[20:21], v[170:171]
	v_fma_f64 v[170:171], v[98:99], s[20:21], v[196:197]
	v_fma_f64 v[22:23], v[80:81], s[20:21], -v[160:161]
	v_add_f64 v[6:7], v[6:7], v[8:9]
	v_add_f64 v[0:1], v[0:1], v[70:71]
	v_fma_f64 v[8:9], v[90:91], s[12:13], v[12:13]
	v_fma_f64 v[70:71], v[90:91], s[20:21], v[14:15]
	v_fma_f64 v[14:15], v[90:91], s[20:21], -v[14:15]
	v_fma_f64 v[12:13], v[90:91], s[12:13], -v[12:13]
	v_mul_f64 v[90:91], v[68:69], s[30:31]
	v_add_f64 v[4:5], v[176:177], v[4:5]
	v_add_f64 v[94:95], v[94:95], v[150:151]
	;; [unrolled: 1-line block ×3, first 2 shown]
	v_mul_f64 v[164:165], v[20:21], s[18:19]
	v_fma_f64 v[172:173], v[62:63], s[20:21], -v[166:167]
	v_add_f64 v[174:175], v[174:175], v[178:179]
	v_mul_f64 v[20:21], v[20:21], s[24:25]
	v_fma_f64 v[178:179], v[62:63], s[12:13], -v[10:11]
	v_mul_f64 v[176:177], v[78:79], s[18:19]
	v_mul_f64 v[78:79], v[78:79], s[24:25]
	v_fma_f64 v[166:167], v[62:63], s[20:21], v[166:167]
	v_fma_f64 v[10:11], v[62:63], s[12:13], v[10:11]
	v_add_f64 v[2:3], v[188:189], v[2:3]
	v_mul_f64 v[68:69], v[68:69], s[16:17]
	v_fma_f64 v[160:161], v[84:85], s[20:21], -v[184:185]
	v_add_f64 v[6:7], v[6:7], v[58:59]
	v_add_f64 v[0:1], v[0:1], v[60:61]
	;; [unrolled: 1-line block ×6, first 2 shown]
	v_mul_f64 v[36:37], v[66:67], s[26:27]
	v_mul_f64 v[66:67], v[66:67], s[18:19]
	v_add_f64 v[62:63], v[170:171], v[94:95]
	v_mul_f64 v[94:95], v[76:77], s[30:31]
	v_fma_f64 v[170:171], v[86:87], s[4:5], -v[164:165]
	v_add_f64 v[172:173], v[38:39], v[172:173]
	v_mul_f64 v[76:77], v[76:77], s[16:17]
	v_fma_f64 v[188:189], v[86:87], s[20:21], -v[20:21]
	v_add_f64 v[178:179], v[38:39], v[178:179]
	v_fma_f64 v[186:187], v[102:103], s[4:5], v[176:177]
	v_fma_f64 v[190:191], v[102:103], s[20:21], v[78:79]
	;; [unrolled: 1-line block ×3, first 2 shown]
	v_add_f64 v[70:71], v[38:39], v[166:167]
	v_fma_f64 v[164:165], v[102:103], s[4:5], -v[176:177]
	v_fma_f64 v[20:21], v[86:87], s[20:21], v[20:21]
	v_add_f64 v[10:11], v[38:39], v[10:11]
	v_fma_f64 v[38:39], v[102:103], s[20:21], -v[78:79]
	v_fma_f64 v[86:87], v[84:85], s[6:7], -v[90:91]
	v_add_f64 v[6:7], v[6:7], v[54:55]
	v_add_f64 v[0:1], v[0:1], v[52:53]
	v_mul_f64 v[78:79], v[74:75], s[26:27]
	v_mul_f64 v[74:75], v[74:75], s[18:19]
	v_fma_f64 v[54:55], v[84:85], s[6:7], v[90:91]
	v_mul_f64 v[18:19], v[64:65], s[18:19]
	v_add_f64 v[2:3], v[160:161], v[2:3]
	v_fma_f64 v[166:167], v[98:99], s[6:7], v[94:95]
	v_fma_f64 v[160:161], v[96:97], s[12:13], v[194:195]
	v_add_f64 v[102:103], v[170:171], v[172:173]
	v_fma_f64 v[170:171], v[84:85], s[0:1], -v[68:69]
	v_fma_f64 v[176:177], v[98:99], s[0:1], v[76:77]
	v_add_f64 v[172:173], v[188:189], v[178:179]
	v_add_f64 v[52:53], v[186:187], v[58:59]
	;; [unrolled: 1-line block ×3, first 2 shown]
	v_fma_f64 v[68:69], v[84:85], s[0:1], v[68:69]
	v_add_f64 v[58:59], v[60:61], v[70:71]
	v_fma_f64 v[60:61], v[98:99], s[6:7], -v[94:95]
	v_add_f64 v[14:15], v[164:165], v[14:15]
	v_add_f64 v[10:11], v[20:21], v[10:11]
	v_fma_f64 v[20:21], v[98:99], s[0:1], -v[76:77]
	v_add_f64 v[12:13], v[38:39], v[12:13]
	v_mul_f64 v[38:39], v[64:65], s[14:15]
	v_fma_f64 v[76:77], v[82:83], s[0:1], -v[36:37]
	v_mul_f64 v[64:65], v[64:65], s[22:23]
	v_fma_f64 v[90:91], v[82:83], s[4:5], -v[66:67]
	v_add_f64 v[6:7], v[6:7], v[48:49]
	v_add_f64 v[0:1], v[0:1], v[46:47]
	v_mul_f64 v[110:111], v[72:73], s[16:17]
	v_add_f64 v[158:159], v[158:159], v[168:169]
	v_mul_f64 v[168:169], v[72:73], s[18:19]
	;; [unrolled: 2-line block ×3, first 2 shown]
	v_mul_f64 v[72:73], v[72:73], s[22:23]
	v_add_f64 v[94:95], v[170:171], v[172:173]
	v_fma_f64 v[98:99], v[96:97], s[4:5], v[74:75]
	v_add_f64 v[8:9], v[176:177], v[8:9]
	v_fma_f64 v[86:87], v[96:97], s[0:1], v[78:79]
	v_add_f64 v[46:47], v[166:167], v[52:53]
	v_fma_f64 v[182:183], v[82:83], s[12:13], -v[182:183]
	v_fma_f64 v[36:37], v[82:83], s[0:1], v[36:37]
	v_add_f64 v[48:49], v[54:55], v[58:59]
	v_fma_f64 v[52:53], v[96:97], s[0:1], -v[78:79]
	v_add_f64 v[14:15], v[60:61], v[14:15]
	v_fma_f64 v[54:55], v[82:83], s[4:5], v[66:67]
	v_add_f64 v[10:11], v[68:69], v[10:11]
	v_fma_f64 v[58:59], v[96:97], s[4:5], -v[74:75]
	v_add_f64 v[12:13], v[20:21], v[12:13]
	v_add_f64 v[68:69], v[160:161], v[62:63]
	v_fma_f64 v[60:61], v[80:81], s[12:13], -v[38:39]
	v_fma_f64 v[66:67], v[80:81], s[6:7], -v[64:65]
	v_add_f64 v[6:7], v[6:7], v[42:43]
	v_add_f64 v[0:1], v[0:1], v[56:57]
	;; [unrolled: 1-line block ×3, first 2 shown]
	v_fma_f64 v[74:75], v[88:89], s[12:13], v[70:71]
	v_fma_f64 v[78:79], v[88:89], s[6:7], v[72:73]
	v_add_f64 v[76:77], v[90:91], v[94:95]
	v_fma_f64 v[150:151], v[80:81], s[4:5], v[18:19]
	v_add_f64 v[8:9], v[98:99], v[8:9]
	v_fma_f64 v[18:19], v[80:81], s[4:5], -v[18:19]
	v_add_f64 v[82:83], v[86:87], v[46:47]
	v_add_f64 v[2:3], v[182:183], v[2:3]
	v_fma_f64 v[20:21], v[88:89], s[4:5], v[168:169]
	v_fma_f64 v[210:211], v[88:89], s[0:1], -v[110:111]
	v_fma_f64 v[104:105], v[80:81], s[0:1], -v[104:105]
	v_fma_f64 v[110:111], v[88:89], s[0:1], v[110:111]
	v_fma_f64 v[184:185], v[88:89], s[4:5], -v[168:169]
	v_fma_f64 v[84:85], v[80:81], s[12:13], v[38:39]
	v_add_f64 v[86:87], v[36:37], v[48:49]
	v_fma_f64 v[90:91], v[88:89], s[12:13], -v[70:71]
	v_add_f64 v[14:15], v[52:53], v[14:15]
	v_fma_f64 v[80:81], v[80:81], s[6:7], v[64:65]
	v_add_f64 v[10:11], v[54:55], v[10:11]
	v_fma_f64 v[88:89], v[88:89], s[6:7], -v[72:73]
	v_add_f64 v[12:13], v[58:59], v[12:13]
	v_add_f64 v[46:47], v[60:61], v[62:63]
	;; [unrolled: 1-line block ×16, first 2 shown]
	v_mov_b32_e32 v0, 0xa5
	v_add_f64 v[70:71], v[150:151], v[156:157]
	v_add_f64 v[68:69], v[184:185], v[174:175]
	;; [unrolled: 1-line block ×6, first 2 shown]
	v_mul_u32_u24_sdwa v0, v247, v0 dst_sel:DWORD dst_unused:UNUSED_PAD src0_sel:WORD_0 src1_sel:DWORD
	v_add_lshl_u32 v0, v0, v248, 4
	ds_write_b128 v0, v[64:67]
	ds_write_b128 v0, v[60:63] offset:240
	ds_write_b128 v0, v[44:47] offset:480
	;; [unrolled: 1-line block ×10, first 2 shown]
.LBB0_17:
	s_or_b32 exec_lo, exec_lo, s33
	s_waitcnt lgkmcnt(0)
	s_barrier
	buffer_gl0_inv
	ds_read_b128 v[36:39], v241 offset:7920
	ds_read_b128 v[40:43], v241 offset:15840
	;; [unrolled: 1-line block ×7, first 2 shown]
	s_mov_b32 s0, 0xe8584caa
	s_mov_b32 s1, 0xbfebb67a
	;; [unrolled: 1-line block ×4, first 2 shown]
	s_mul_i32 s7, s9, 0x1ef0
	s_mul_i32 s6, s8, 0x1ef0
	s_waitcnt lgkmcnt(6)
	v_mul_f64 v[0:1], v[114:115], v[38:39]
	s_waitcnt lgkmcnt(5)
	v_mul_f64 v[2:3], v[118:119], v[42:43]
	v_mul_f64 v[4:5], v[114:115], v[36:37]
	v_mul_f64 v[6:7], v[118:119], v[40:41]
	s_waitcnt lgkmcnt(4)
	v_mul_f64 v[8:9], v[114:115], v[46:47]
	s_waitcnt lgkmcnt(3)
	v_mul_f64 v[10:11], v[118:119], v[50:51]
	v_mul_f64 v[12:13], v[114:115], v[44:45]
	v_mul_f64 v[14:15], v[118:119], v[48:49]
	;; [unrolled: 6-line block ×3, first 2 shown]
	v_fma_f64 v[0:1], v[112:113], v[36:37], v[0:1]
	v_fma_f64 v[2:3], v[116:117], v[40:41], v[2:3]
	v_fma_f64 v[4:5], v[112:113], v[38:39], -v[4:5]
	v_fma_f64 v[6:7], v[116:117], v[42:43], -v[6:7]
	v_fma_f64 v[8:9], v[112:113], v[44:45], v[8:9]
	v_fma_f64 v[10:11], v[116:117], v[48:49], v[10:11]
	v_fma_f64 v[12:13], v[112:113], v[46:47], -v[12:13]
	v_fma_f64 v[14:15], v[116:117], v[50:51], -v[14:15]
	v_fma_f64 v[16:17], v[120:121], v[52:53], v[16:17]
	v_fma_f64 v[18:19], v[124:125], v[56:57], v[18:19]
	v_fma_f64 v[20:21], v[120:121], v[54:55], -v[20:21]
	v_fma_f64 v[22:23], v[124:125], v[58:59], -v[22:23]
	ds_read_b128 v[36:39], v241
	ds_read_b128 v[40:43], v241 offset:2640
	s_waitcnt lgkmcnt(0)
	s_barrier
	buffer_gl0_inv
	v_add_f64 v[44:45], v[0:1], v[2:3]
	v_add_f64 v[46:47], v[4:5], v[6:7]
	v_add_f64 v[58:59], v[4:5], -v[6:7]
	v_add_f64 v[48:49], v[8:9], v[10:11]
	v_add_f64 v[50:51], v[12:13], v[14:15]
	;; [unrolled: 1-line block ×9, first 2 shown]
	v_add_f64 v[0:1], v[0:1], -v[2:3]
	v_add_f64 v[12:13], v[12:13], -v[14:15]
	;; [unrolled: 1-line block ×3, first 2 shown]
	v_add_f64 v[70:71], v[62:63], v[20:21]
	v_add_f64 v[20:21], v[20:21], -v[22:23]
	v_add_f64 v[16:17], v[16:17], -v[18:19]
	v_fma_f64 v[72:73], v[44:45], -0.5, v[36:37]
	v_fma_f64 v[74:75], v[46:47], -0.5, v[38:39]
	;; [unrolled: 1-line block ×4, first 2 shown]
	v_add_f64 v[44:45], v[68:69], v[18:19]
	v_fma_f64 v[80:81], v[52:53], -0.5, v[60:61]
	v_add_f64 v[36:37], v[56:57], v[2:3]
	v_fma_f64 v[82:83], v[54:55], -0.5, v[62:63]
	v_add_f64 v[38:39], v[4:5], v[6:7]
	v_add_f64 v[40:41], v[64:65], v[10:11]
	;; [unrolled: 1-line block ×4, first 2 shown]
	v_fma_f64 v[48:49], v[58:59], s[0:1], v[72:73]
	v_fma_f64 v[52:53], v[58:59], s[4:5], v[72:73]
	;; [unrolled: 1-line block ×12, first 2 shown]
	ds_write_b128 v241, v[36:39]
	ds_write_b128 v241, v[40:43] offset:7920
	ds_write_b128 v241, v[48:51] offset:2640
	;; [unrolled: 1-line block ×8, first 2 shown]
	s_waitcnt lgkmcnt(0)
	s_barrier
	buffer_gl0_inv
	ds_read_b128 v[36:39], v241 offset:7920
	ds_read_b128 v[40:43], v241 offset:15840
	ds_read_b128 v[44:47], v241 offset:10560
	ds_read_b128 v[48:51], v241 offset:18480
	ds_read_b128 v[52:55], v241 offset:13200
	ds_read_b128 v[56:59], v241 offset:21120
	ds_read_b128 v[60:63], v241 offset:5280
	v_mad_u64_u32 v[64:65], null, s10, v192, 0
	s_mul_hi_u32 s10, s8, 0x1ef0
	s_waitcnt lgkmcnt(6)
	v_mul_f64 v[0:1], v[130:131], v[38:39]
	s_waitcnt lgkmcnt(5)
	v_mul_f64 v[2:3], v[134:135], v[42:43]
	;; [unrolled: 2-line block ×4, first 2 shown]
	v_mul_f64 v[4:5], v[130:131], v[36:37]
	v_mul_f64 v[6:7], v[134:135], v[40:41]
	;; [unrolled: 1-line block ×4, first 2 shown]
	s_waitcnt lgkmcnt(2)
	v_mul_f64 v[16:17], v[146:147], v[54:55]
	v_mul_f64 v[18:19], v[146:147], v[52:53]
	s_waitcnt lgkmcnt(1)
	v_mul_f64 v[20:21], v[154:155], v[58:59]
	v_mul_f64 v[22:23], v[154:155], v[56:57]
	v_fma_f64 v[0:1], v[128:129], v[36:37], v[0:1]
	v_fma_f64 v[2:3], v[132:133], v[40:41], v[2:3]
	v_fma_f64 v[12:13], v[136:137], v[46:47], -v[12:13]
	v_fma_f64 v[10:11], v[140:141], v[48:49], v[10:11]
	v_fma_f64 v[4:5], v[128:129], v[38:39], -v[4:5]
	v_fma_f64 v[6:7], v[132:133], v[42:43], -v[6:7]
	v_fma_f64 v[8:9], v[136:137], v[44:45], v[8:9]
	v_fma_f64 v[14:15], v[140:141], v[50:51], -v[14:15]
	v_fma_f64 v[16:17], v[144:145], v[52:53], v[16:17]
	;; [unrolled: 2-line block ×3, first 2 shown]
	v_fma_f64 v[22:23], v[152:153], v[58:59], -v[22:23]
	v_mov_b32_e32 v46, v65
	ds_read_b128 v[36:39], v241
	ds_read_b128 v[40:43], v241 offset:2640
	v_mad_u64_u32 v[44:45], null, s8, v242, 0
	v_add_f64 v[47:48], v[0:1], v[2:3]
	v_add_f64 v[68:69], v[4:5], -v[6:7]
	v_add_f64 v[52:53], v[8:9], v[10:11]
	v_add_f64 v[54:55], v[12:13], v[14:15]
	s_waitcnt lgkmcnt(2)
	v_add_f64 v[74:75], v[60:61], v[16:17]
	v_add_f64 v[76:77], v[62:63], v[18:19]
	;; [unrolled: 1-line block ×4, first 2 shown]
	s_waitcnt lgkmcnt(1)
	v_add_f64 v[66:67], v[36:37], v[0:1]
	s_waitcnt lgkmcnt(0)
	v_add_f64 v[70:71], v[40:41], v[8:9]
	v_add_f64 v[72:73], v[42:43], v[12:13]
	v_add_f64 v[0:1], v[0:1], -v[2:3]
	v_add_f64 v[12:13], v[12:13], -v[14:15]
	;; [unrolled: 1-line block ×5, first 2 shown]
	v_mad_u64_u32 v[49:50], null, s11, v192, v[46:47]
	v_add_f64 v[50:51], v[4:5], v[6:7]
	v_add_f64 v[4:5], v[38:39], v[4:5]
	v_fma_f64 v[78:79], v[47:48], -0.5, v[36:37]
	v_fma_f64 v[82:83], v[52:53], -0.5, v[40:41]
	;; [unrolled: 1-line block ×3, first 2 shown]
	v_mad_u64_u32 v[45:46], null, s9, v242, v[45:46]
	v_fma_f64 v[86:87], v[56:57], -0.5, v[60:61]
	v_fma_f64 v[88:89], v[58:59], -0.5, v[62:63]
	v_mov_b32_e32 v65, v49
	v_add_f64 v[36:37], v[66:67], v[2:3]
	v_add_f64 v[40:41], v[70:71], v[10:11]
	;; [unrolled: 1-line block ×3, first 2 shown]
	v_lshlrev_b64 v[90:91], 4, v[44:45]
	v_lshlrev_b64 v[64:65], 4, v[64:65]
	v_add_f64 v[44:45], v[74:75], v[20:21]
	v_add_f64 v[46:47], v[76:77], v[22:23]
	v_add_co_u32 v92, vcc_lo, s2, v64
	v_fma_f64 v[80:81], v[50:51], -0.5, v[38:39]
	v_add_f64 v[38:39], v[4:5], v[6:7]
	v_fma_f64 v[48:49], v[68:69], s[0:1], v[78:79]
	v_fma_f64 v[52:53], v[68:69], s[4:5], v[78:79]
	;; [unrolled: 1-line block ×6, first 2 shown]
	v_add_co_ci_u32_e32 v93, vcc_lo, s3, v65, vcc_lo
	v_fma_f64 v[64:65], v[18:19], s[0:1], v[86:87]
	v_fma_f64 v[66:67], v[16:17], s[4:5], v[88:89]
	;; [unrolled: 1-line block ×4, first 2 shown]
	v_add_co_u32 v72, vcc_lo, v92, v90
	v_add_co_ci_u32_e32 v73, vcc_lo, v93, v91, vcc_lo
	s_mov_b32 s2, 0xef473283
	v_add_co_u32 v74, vcc_lo, v72, s6
	s_mov_b32 s3, 0x3f4610e4
	v_fma_f64 v[50:51], v[0:1], s[4:5], v[80:81]
	v_fma_f64 v[54:55], v[0:1], s[0:1], v[80:81]
	s_add_i32 s0, s10, s7
	s_mul_i32 s1, s9, 0xffffcc70
	v_add_co_ci_u32_e32 v75, vcc_lo, s0, v73, vcc_lo
	ds_write_b128 v241, v[36:39]
	ds_write_b128 v241, v[40:43] offset:2640
	ds_write_b128 v241, v[44:47] offset:5280
	ds_write_b128 v241, v[48:51] offset:7920
	ds_write_b128 v241, v[52:55] offset:15840
	ds_write_b128 v241, v[56:59] offset:10560
	ds_write_b128 v241, v[60:63] offset:18480
	ds_write_b128 v241, v[64:67] offset:13200
	ds_write_b128 v241, v[68:71] offset:21120
	s_waitcnt lgkmcnt(0)
	s_barrier
	buffer_gl0_inv
	ds_read_b128 v[36:39], v241
	ds_read_b128 v[40:43], v241 offset:7920
	ds_read_b128 v[44:47], v241 offset:15840
	;; [unrolled: 1-line block ×8, first 2 shown]
	s_clause 0x7
	buffer_load_dword v104, off, s[44:47], 0 offset:64
	buffer_load_dword v105, off, s[44:47], 0 offset:68
	buffer_load_dword v106, off, s[44:47], 0 offset:72
	buffer_load_dword v107, off, s[44:47], 0 offset:76
	buffer_load_dword v98, off, s[44:47], 0 offset:32
	buffer_load_dword v99, off, s[44:47], 0 offset:36
	buffer_load_dword v100, off, s[44:47], 0 offset:40
	buffer_load_dword v101, off, s[44:47], 0 offset:44
	v_add_co_u32 v76, vcc_lo, v74, s6
	v_add_co_ci_u32_e32 v77, vcc_lo, s0, v75, vcc_lo
	s_sub_i32 s1, s1, s8
	v_mad_u64_u32 v[78:79], null, 0xffffcc70, s8, v[76:77]
	s_waitcnt lgkmcnt(8)
	v_mul_f64 v[0:1], v[245:246], v[38:39]
	v_mul_f64 v[2:3], v[245:246], v[36:37]
	s_waitcnt lgkmcnt(7)
	v_mul_f64 v[4:5], v[26:27], v[42:43]
	v_mul_f64 v[6:7], v[26:27], v[40:41]
	v_add_nc_u32_e32 v79, s1, v79
	s_waitcnt lgkmcnt(1)
	v_mul_f64 v[84:85], v[30:31], v[66:67]
	v_mul_f64 v[30:31], v[30:31], v[64:65]
	s_waitcnt lgkmcnt(0)
	v_mul_f64 v[86:87], v[34:35], v[70:71]
	v_mul_f64 v[34:35], v[34:35], v[68:69]
	v_add_co_u32 v80, vcc_lo, v78, s6
	v_add_co_ci_u32_e32 v81, vcc_lo, s0, v79, vcc_lo
	v_add_co_u32 v88, vcc_lo, v80, s6
	v_add_co_ci_u32_e32 v89, vcc_lo, s0, v81, vcc_lo
	v_fma_f64 v[0:1], v[243:244], v[36:37], v[0:1]
	v_fma_f64 v[2:3], v[243:244], v[38:39], -v[2:3]
	v_fma_f64 v[4:5], v[24:25], v[40:41], v[4:5]
	v_fma_f64 v[6:7], v[24:25], v[42:43], -v[6:7]
	v_mad_u64_u32 v[40:41], null, 0xffffcc70, s8, v[88:89]
	v_fma_f64 v[36:37], v[28:29], v[64:65], v[84:85]
	v_fma_f64 v[30:31], v[28:29], v[66:67], -v[30:31]
	v_fma_f64 v[38:39], v[32:33], v[68:69], v[86:87]
	v_fma_f64 v[34:35], v[32:33], v[70:71], -v[34:35]
	v_add_nc_u32_e32 v41, s1, v41
	v_mul_f64 v[0:1], v[0:1], s[2:3]
	v_mul_f64 v[2:3], v[2:3], s[2:3]
	;; [unrolled: 1-line block ×8, first 2 shown]
	v_add_co_u32 v36, vcc_lo, v40, s6
	v_add_co_ci_u32_e32 v37, vcc_lo, s0, v41, vcc_lo
	v_add_co_u32 v38, vcc_lo, v36, s6
	v_add_co_ci_u32_e32 v39, vcc_lo, s0, v37, vcc_lo
	s_waitcnt vmcnt(4)
	v_mul_f64 v[8:9], v[106:107], v[46:47]
	s_waitcnt vmcnt(0)
	v_mul_f64 v[12:13], v[100:101], v[50:51]
	v_mul_f64 v[14:15], v[100:101], v[48:49]
	s_clause 0xb
	buffer_load_dword v100, off, s[44:47], 0 offset:48
	buffer_load_dword v101, off, s[44:47], 0 offset:52
	;; [unrolled: 1-line block ×8, first 2 shown]
	buffer_load_dword v90, off, s[44:47], 0
	buffer_load_dword v91, off, s[44:47], 0 offset:4
	buffer_load_dword v92, off, s[44:47], 0 offset:8
	;; [unrolled: 1-line block ×3, first 2 shown]
	v_mul_f64 v[10:11], v[106:107], v[44:45]
	v_fma_f64 v[8:9], v[104:105], v[44:45], v[8:9]
	v_fma_f64 v[12:13], v[98:99], v[48:49], v[12:13]
	v_fma_f64 v[14:15], v[98:99], v[50:51], -v[14:15]
	v_fma_f64 v[10:11], v[104:105], v[46:47], -v[10:11]
	v_mul_f64 v[8:9], v[8:9], s[2:3]
	v_mul_f64 v[12:13], v[12:13], s[2:3]
	;; [unrolled: 1-line block ×4, first 2 shown]
	s_waitcnt vmcnt(8)
	v_mul_f64 v[16:17], v[102:103], v[54:55]
	v_mul_f64 v[18:19], v[102:103], v[52:53]
	s_waitcnt vmcnt(4)
	v_mul_f64 v[20:21], v[96:97], v[58:59]
	v_mul_f64 v[22:23], v[96:97], v[56:57]
	;; [unrolled: 3-line block ×3, first 2 shown]
	v_fma_f64 v[16:17], v[100:101], v[52:53], v[16:17]
	v_fma_f64 v[18:19], v[100:101], v[54:55], -v[18:19]
	v_fma_f64 v[20:21], v[94:95], v[56:57], v[20:21]
	v_fma_f64 v[22:23], v[94:95], v[58:59], -v[22:23]
	;; [unrolled: 2-line block ×3, first 2 shown]
	v_mul_f64 v[16:17], v[16:17], s[2:3]
	v_mul_f64 v[18:19], v[18:19], s[2:3]
	;; [unrolled: 1-line block ×6, first 2 shown]
	global_store_dwordx4 v[72:73], v[0:3], off
	global_store_dwordx4 v[74:75], v[4:7], off
	;; [unrolled: 1-line block ×9, first 2 shown]
.LBB0_18:
	s_endpgm
	.section	.rodata,"a",@progbits
	.p2align	6, 0x0
	.amdhsa_kernel bluestein_single_fwd_len1485_dim1_dp_op_CI_CI
		.amdhsa_group_segment_fixed_size 23760
		.amdhsa_private_segment_fixed_size 120
		.amdhsa_kernarg_size 104
		.amdhsa_user_sgpr_count 6
		.amdhsa_user_sgpr_private_segment_buffer 1
		.amdhsa_user_sgpr_dispatch_ptr 0
		.amdhsa_user_sgpr_queue_ptr 0
		.amdhsa_user_sgpr_kernarg_segment_ptr 1
		.amdhsa_user_sgpr_dispatch_id 0
		.amdhsa_user_sgpr_flat_scratch_init 0
		.amdhsa_user_sgpr_private_segment_size 0
		.amdhsa_wavefront_size32 1
		.amdhsa_uses_dynamic_stack 0
		.amdhsa_system_sgpr_private_segment_wavefront_offset 1
		.amdhsa_system_sgpr_workgroup_id_x 1
		.amdhsa_system_sgpr_workgroup_id_y 0
		.amdhsa_system_sgpr_workgroup_id_z 0
		.amdhsa_system_sgpr_workgroup_info 0
		.amdhsa_system_vgpr_workitem_id 0
		.amdhsa_next_free_vgpr 256
		.amdhsa_next_free_sgpr 48
		.amdhsa_reserve_vcc 1
		.amdhsa_reserve_flat_scratch 0
		.amdhsa_float_round_mode_32 0
		.amdhsa_float_round_mode_16_64 0
		.amdhsa_float_denorm_mode_32 3
		.amdhsa_float_denorm_mode_16_64 3
		.amdhsa_dx10_clamp 1
		.amdhsa_ieee_mode 1
		.amdhsa_fp16_overflow 0
		.amdhsa_workgroup_processor_mode 1
		.amdhsa_memory_ordered 1
		.amdhsa_forward_progress 0
		.amdhsa_shared_vgpr_count 0
		.amdhsa_exception_fp_ieee_invalid_op 0
		.amdhsa_exception_fp_denorm_src 0
		.amdhsa_exception_fp_ieee_div_zero 0
		.amdhsa_exception_fp_ieee_overflow 0
		.amdhsa_exception_fp_ieee_underflow 0
		.amdhsa_exception_fp_ieee_inexact 0
		.amdhsa_exception_int_div_zero 0
	.end_amdhsa_kernel
	.text
.Lfunc_end0:
	.size	bluestein_single_fwd_len1485_dim1_dp_op_CI_CI, .Lfunc_end0-bluestein_single_fwd_len1485_dim1_dp_op_CI_CI
                                        ; -- End function
	.section	.AMDGPU.csdata,"",@progbits
; Kernel info:
; codeLenInByte = 17484
; NumSgprs: 50
; NumVgprs: 256
; ScratchSize: 120
; MemoryBound: 0
; FloatMode: 240
; IeeeMode: 1
; LDSByteSize: 23760 bytes/workgroup (compile time only)
; SGPRBlocks: 6
; VGPRBlocks: 31
; NumSGPRsForWavesPerEU: 50
; NumVGPRsForWavesPerEU: 256
; Occupancy: 4
; WaveLimiterHint : 1
; COMPUTE_PGM_RSRC2:SCRATCH_EN: 1
; COMPUTE_PGM_RSRC2:USER_SGPR: 6
; COMPUTE_PGM_RSRC2:TRAP_HANDLER: 0
; COMPUTE_PGM_RSRC2:TGID_X_EN: 1
; COMPUTE_PGM_RSRC2:TGID_Y_EN: 0
; COMPUTE_PGM_RSRC2:TGID_Z_EN: 0
; COMPUTE_PGM_RSRC2:TIDIG_COMP_CNT: 0
	.text
	.p2alignl 6, 3214868480
	.fill 48, 4, 3214868480
	.type	__hip_cuid_b41dd0b75a41a92d,@object ; @__hip_cuid_b41dd0b75a41a92d
	.section	.bss,"aw",@nobits
	.globl	__hip_cuid_b41dd0b75a41a92d
__hip_cuid_b41dd0b75a41a92d:
	.byte	0                               ; 0x0
	.size	__hip_cuid_b41dd0b75a41a92d, 1

	.ident	"AMD clang version 19.0.0git (https://github.com/RadeonOpenCompute/llvm-project roc-6.4.0 25133 c7fe45cf4b819c5991fe208aaa96edf142730f1d)"
	.section	".note.GNU-stack","",@progbits
	.addrsig
	.addrsig_sym __hip_cuid_b41dd0b75a41a92d
	.amdgpu_metadata
---
amdhsa.kernels:
  - .args:
      - .actual_access:  read_only
        .address_space:  global
        .offset:         0
        .size:           8
        .value_kind:     global_buffer
      - .actual_access:  read_only
        .address_space:  global
        .offset:         8
        .size:           8
        .value_kind:     global_buffer
      - .actual_access:  read_only
        .address_space:  global
        .offset:         16
        .size:           8
        .value_kind:     global_buffer
      - .actual_access:  read_only
        .address_space:  global
        .offset:         24
        .size:           8
        .value_kind:     global_buffer
      - .actual_access:  read_only
        .address_space:  global
        .offset:         32
        .size:           8
        .value_kind:     global_buffer
      - .offset:         40
        .size:           8
        .value_kind:     by_value
      - .address_space:  global
        .offset:         48
        .size:           8
        .value_kind:     global_buffer
      - .address_space:  global
        .offset:         56
        .size:           8
        .value_kind:     global_buffer
      - .address_space:  global
        .offset:         64
        .size:           8
        .value_kind:     global_buffer
      - .address_space:  global
        .offset:         72
        .size:           8
        .value_kind:     global_buffer
      - .offset:         80
        .size:           4
        .value_kind:     by_value
      - .address_space:  global
        .offset:         88
        .size:           8
        .value_kind:     global_buffer
      - .address_space:  global
        .offset:         96
        .size:           8
        .value_kind:     global_buffer
    .group_segment_fixed_size: 23760
    .kernarg_segment_align: 8
    .kernarg_segment_size: 104
    .language:       OpenCL C
    .language_version:
      - 2
      - 0
    .max_flat_workgroup_size: 165
    .name:           bluestein_single_fwd_len1485_dim1_dp_op_CI_CI
    .private_segment_fixed_size: 120
    .sgpr_count:     50
    .sgpr_spill_count: 0
    .symbol:         bluestein_single_fwd_len1485_dim1_dp_op_CI_CI.kd
    .uniform_work_group_size: 1
    .uses_dynamic_stack: false
    .vgpr_count:     256
    .vgpr_spill_count: 29
    .wavefront_size: 32
    .workgroup_processor_mode: 1
amdhsa.target:   amdgcn-amd-amdhsa--gfx1030
amdhsa.version:
  - 1
  - 2
...

	.end_amdgpu_metadata
